;; amdgpu-corpus repo=ROCm/rocFFT kind=compiled arch=gfx906 opt=O3
	.text
	.amdgcn_target "amdgcn-amd-amdhsa--gfx906"
	.amdhsa_code_object_version 6
	.protected	bluestein_single_fwd_len182_dim1_dp_op_CI_CI ; -- Begin function bluestein_single_fwd_len182_dim1_dp_op_CI_CI
	.globl	bluestein_single_fwd_len182_dim1_dp_op_CI_CI
	.p2align	8
	.type	bluestein_single_fwd_len182_dim1_dp_op_CI_CI,@function
bluestein_single_fwd_len182_dim1_dp_op_CI_CI: ; @bluestein_single_fwd_len182_dim1_dp_op_CI_CI
; %bb.0:
	s_load_dwordx4 s[8:11], s[4:5], 0x28
	v_mul_u32_u24_e32 v1, 0x13b2, v0
	s_mov_b64 s[50:51], s[2:3]
	v_lshrrev_b32_e32 v1, 16, v1
	s_mov_b64 s[48:49], s[0:1]
	v_lshl_add_u32 v6, s6, 2, v1
	v_mov_b32_e32 v7, 0
	s_add_u32 s48, s48, s7
	s_waitcnt lgkmcnt(0)
	v_cmp_gt_u64_e32 vcc, s[8:9], v[6:7]
	s_addc_u32 s49, s49, 0
	s_and_saveexec_b64 s[0:1], vcc
	s_cbranch_execz .LBB0_15
; %bb.1:
	s_load_dwordx4 s[12:15], s[4:5], 0x18
	s_load_dwordx2 s[20:21], s[4:5], 0x0
	v_mul_lo_u16_e32 v2, 13, v1
	v_sub_u16_e32 v11, v0, v2
	s_waitcnt lgkmcnt(0)
	s_load_dwordx4 s[0:3], s[12:13], 0x0
	s_waitcnt lgkmcnt(0)
	v_mad_u64_u32 v[2:3], s[6:7], s2, v6, 0
	v_mad_u64_u32 v[4:5], s[6:7], s0, v11, 0
	v_mov_b32_e32 v0, v3
	v_mov_b32_e32 v3, v5
	;; [unrolled: 1-line block ×3, first 2 shown]
	buffer_store_dword v5, off, s[48:51], 0 ; 4-byte Folded Spill
	s_nop 0
	buffer_store_dword v6, off, s[48:51], 0 offset:4 ; 4-byte Folded Spill
	v_mad_u64_u32 v[5:6], s[2:3], s3, v6, v[0:1]
	v_mad_u64_u32 v[6:7], s[2:3], s1, v11, v[3:4]
	v_mov_b32_e32 v3, v5
	v_lshlrev_b64 v[2:3], 4, v[2:3]
	v_mov_b32_e32 v0, s11
	v_mov_b32_e32 v5, v6
	v_add_co_u32_e32 v52, vcc, s10, v2
	v_addc_co_u32_e32 v53, vcc, v0, v3, vcc
	v_lshlrev_b64 v[2:3], 4, v[4:5]
	s_mul_i32 s2, s1, 0xe0
	v_add_co_u32_e32 v2, vcc, v52, v2
	s_mul_hi_u32 s3, s0, 0xe0
	v_addc_co_u32_e32 v3, vcc, v53, v3, vcc
	s_add_i32 s2, s3, s2
	s_mul_i32 s3, s0, 0xe0
	v_mov_b32_e32 v0, s2
	v_add_co_u32_e32 v6, vcc, s3, v2
	v_lshlrev_b32_e32 v5, 4, v11
	v_addc_co_u32_e32 v7, vcc, v3, v0, vcc
	global_load_dwordx4 v[54:57], v[2:3], off
	global_load_dwordx4 v[58:61], v[6:7], off
	global_load_dwordx4 v[44:47], v5, s[20:21]
	global_load_dwordx4 v[36:39], v5, s[20:21] offset:224
	v_add_co_u32_e32 v2, vcc, s3, v6
	v_addc_co_u32_e32 v3, vcc, v7, v0, vcc
	v_add_co_u32_e32 v6, vcc, s3, v2
	v_addc_co_u32_e32 v7, vcc, v3, v0, vcc
	global_load_dwordx4 v[62:65], v[2:3], off
	global_load_dwordx4 v[66:69], v[6:7], off
	global_load_dwordx4 v[122:125], v5, s[20:21] offset:448
	global_load_dwordx4 v[28:31], v5, s[20:21] offset:672
	v_add_co_u32_e32 v2, vcc, s3, v6
	v_addc_co_u32_e32 v3, vcc, v7, v0, vcc
	global_load_dwordx4 v[70:73], v[2:3], off
	v_add_co_u32_e32 v2, vcc, s3, v2
	v_or_b32_e32 v4, 0x70, v11
	v_addc_co_u32_e32 v3, vcc, v3, v0, vcc
	v_mad_u64_u32 v[6:7], s[6:7], s0, v4, 0
	global_load_dwordx4 v[74:77], v[2:3], off
	global_load_dwordx4 v[118:121], v5, s[20:21] offset:896
	global_load_dwordx4 v[20:23], v5, s[20:21] offset:1120
	v_add_co_u32_e32 v2, vcc, s3, v2
	v_addc_co_u32_e32 v3, vcc, v3, v0, vcc
	global_load_dwordx4 v[78:81], v[2:3], off
	v_add_co_u32_e32 v2, vcc, s3, v2
	v_addc_co_u32_e32 v3, vcc, v3, v0, vcc
	v_mov_b32_e32 v0, v7
	v_mad_u64_u32 v[12:13], s[6:7], s1, v4, v[0:1]
	buffer_store_dword v4, off, s[48:51], 0 offset:8 ; 4-byte Folded Spill
	v_mov_b32_e32 v0, 0x1c0
	global_load_dwordx4 v[82:85], v[2:3], off
	global_load_dwordx4 v[48:51], v5, s[20:21] offset:1344
	global_load_dwordx4 v[40:43], v5, s[20:21] offset:1568
	v_mov_b32_e32 v7, v12
	v_mad_u64_u32 v[2:3], s[6:7], s0, v0, v[2:3]
	v_lshlrev_b64 v[6:7], 4, v[6:7]
	s_mul_i32 s6, s1, 0x1c0
	v_add_co_u32_e32 v6, vcc, v52, v6
	v_addc_co_u32_e32 v7, vcc, v53, v7, vcc
	v_add_u32_e32 v3, s6, v3
	global_load_dwordx4 v[86:89], v[6:7], off
	global_load_dwordx4 v[90:93], v[2:3], off
	global_load_dwordx4 v[114:117], v5, s[20:21] offset:1792
	global_load_dwordx4 v[32:35], v5, s[20:21] offset:2016
	v_mov_b32_e32 v0, s2
	v_add_co_u32_e32 v2, vcc, s3, v2
	v_addc_co_u32_e32 v3, vcc, v3, v0, vcc
	global_load_dwordx4 v[94:97], v[2:3], off
	v_add_co_u32_e32 v2, vcc, s3, v2
	v_addc_co_u32_e32 v3, vcc, v3, v0, vcc
	global_load_dwordx4 v[98:101], v[2:3], off
	global_load_dwordx4 v[16:19], v5, s[20:21] offset:2240
	global_load_dwordx4 v[12:15], v5, s[20:21] offset:2464
	v_add_co_u32_e32 v2, vcc, s3, v2
	v_addc_co_u32_e32 v3, vcc, v3, v0, vcc
	global_load_dwordx4 v[102:105], v[2:3], off
	global_load_dwordx4 v[24:27], v5, s[20:21] offset:2688
	v_and_b32_e32 v0, 3, v1
	v_cmp_eq_u16_e32 vcc, 0, v11
	s_waitcnt vmcnt(24)
	v_mul_f64 v[2:3], v[56:57], v[46:47]
	s_waitcnt vmcnt(23)
	v_mul_f64 v[106:107], v[60:61], v[38:39]
	v_mul_f64 v[108:109], v[58:59], v[38:39]
	v_mul_f64 v[6:7], v[54:55], v[46:47]
	v_fma_f64 v[54:55], v[54:55], v[44:45], v[2:3]
	v_fma_f64 v[58:59], v[58:59], v[36:37], v[106:107]
	buffer_store_dword v36, off, s[48:51], 0 offset:112 ; 4-byte Folded Spill
	s_nop 0
	buffer_store_dword v37, off, s[48:51], 0 offset:116 ; 4-byte Folded Spill
	buffer_store_dword v38, off, s[48:51], 0 offset:120 ; 4-byte Folded Spill
	;; [unrolled: 1-line block ×3, first 2 shown]
	s_waitcnt vmcnt(24)
	v_mul_f64 v[110:111], v[64:65], v[124:125]
	s_waitcnt vmcnt(23)
	v_mul_f64 v[2:3], v[68:69], v[30:31]
	v_mul_f64 v[112:113], v[62:63], v[124:125]
	;; [unrolled: 1-line block ×3, first 2 shown]
	v_fma_f64 v[56:57], v[56:57], v[44:45], -v[6:7]
	v_mul_u32_u24_e32 v6, 0xb6, v0
	v_lshlrev_b32_e32 v255, 4, v6
	v_add_u32_e32 v232, v255, v5
	v_fma_f64 v[62:63], v[62:63], v[122:123], v[110:111]
	buffer_store_dword v122, off, s[48:51], 0 offset:160 ; 4-byte Folded Spill
	s_nop 0
	buffer_store_dword v123, off, s[48:51], 0 offset:164 ; 4-byte Folded Spill
	buffer_store_dword v124, off, s[48:51], 0 offset:168 ; 4-byte Folded Spill
	;; [unrolled: 1-line block ×3, first 2 shown]
	s_load_dwordx2 s[22:23], s[4:5], 0x38
	s_load_dwordx4 s[8:11], s[14:15], 0x0
	v_fma_f64 v[1:2], v[66:67], v[28:29], v[2:3]
	buffer_store_dword v28, off, s[48:51], 0 offset:80 ; 4-byte Folded Spill
	s_nop 0
	buffer_store_dword v29, off, s[48:51], 0 offset:84 ; 4-byte Folded Spill
	buffer_store_dword v30, off, s[48:51], 0 offset:88 ; 4-byte Folded Spill
	;; [unrolled: 1-line block ×3, first 2 shown]
	s_waitcnt vmcnt(28)
	v_mul_f64 v[110:111], v[70:71], v[120:121]
	v_mov_b32_e32 v0, s21
	v_fma_f64 v[60:61], v[60:61], v[36:37], -v[108:109]
	v_mul_f64 v[108:109], v[72:73], v[120:121]
	v_fma_f64 v[66:67], v[70:71], v[118:119], v[108:109]
	buffer_store_dword v118, off, s[48:51], 0 offset:144 ; 4-byte Folded Spill
	s_nop 0
	buffer_store_dword v119, off, s[48:51], 0 offset:148 ; 4-byte Folded Spill
	buffer_store_dword v120, off, s[48:51], 0 offset:152 ; 4-byte Folded Spill
	;; [unrolled: 1-line block ×3, first 2 shown]
	v_fma_f64 v[64:65], v[64:65], v[122:123], -v[112:113]
	s_waitcnt vmcnt(19)
	v_mul_f64 v[70:71], v[96:97], v[18:19]
	v_fma_f64 v[3:4], v[68:69], v[28:29], -v[106:107]
	v_fma_f64 v[70:71], v[94:95], v[16:17], v[70:71]
	v_fma_f64 v[68:69], v[72:73], v[118:119], -v[110:111]
	ds_write_b128 v232, v[54:57]
	ds_write_b128 v232, v[58:61] offset:224
	ds_write_b128 v232, v[62:65] offset:448
	ds_write_b128 v232, v[1:4] offset:672
	ds_write_b128 v232, v[66:69] offset:896
	v_mul_f64 v[1:2], v[76:77], v[22:23]
	v_mul_f64 v[3:4], v[74:75], v[22:23]
	;; [unrolled: 1-line block ×8, first 2 shown]
	v_fma_f64 v[1:2], v[74:75], v[20:21], v[1:2]
	buffer_store_dword v20, off, s[48:51], 0 offset:48 ; 4-byte Folded Spill
	s_nop 0
	buffer_store_dword v21, off, s[48:51], 0 offset:52 ; 4-byte Folded Spill
	buffer_store_dword v22, off, s[48:51], 0 offset:56 ; 4-byte Folded Spill
	;; [unrolled: 1-line block ×3, first 2 shown]
	s_waitcnt vmcnt(22)
	v_mul_f64 v[74:75], v[100:101], v[14:15]
	v_fma_f64 v[54:55], v[78:79], v[48:49], v[54:55]
	s_waitcnt vmcnt(20)
	v_mul_f64 v[78:79], v[104:105], v[26:27]
	v_fma_f64 v[62:63], v[86:87], v[114:115], v[62:63]
	buffer_store_dword v114, off, s[48:51], 0 offset:128 ; 4-byte Folded Spill
	s_nop 0
	buffer_store_dword v115, off, s[48:51], 0 offset:132 ; 4-byte Folded Spill
	buffer_store_dword v116, off, s[48:51], 0 offset:136 ; 4-byte Folded Spill
	buffer_store_dword v117, off, s[48:51], 0 offset:140 ; 4-byte Folded Spill
	v_fma_f64 v[66:67], v[90:91], v[32:33], v[66:67]
	buffer_store_dword v32, off, s[48:51], 0 offset:96 ; 4-byte Folded Spill
	s_nop 0
	buffer_store_dword v33, off, s[48:51], 0 offset:100 ; 4-byte Folded Spill
	buffer_store_dword v34, off, s[48:51], 0 offset:104 ; 4-byte Folded Spill
	;; [unrolled: 1-line block ×3, first 2 shown]
	v_mul_f64 v[72:73], v[94:95], v[18:19]
	buffer_store_dword v16, off, s[48:51], 0 offset:32 ; 4-byte Folded Spill
	s_nop 0
	buffer_store_dword v17, off, s[48:51], 0 offset:36 ; 4-byte Folded Spill
	buffer_store_dword v18, off, s[48:51], 0 offset:40 ; 4-byte Folded Spill
	;; [unrolled: 1-line block ×3, first 2 shown]
	v_fma_f64 v[74:75], v[98:99], v[12:13], v[74:75]
	v_fma_f64 v[56:57], v[80:81], v[48:49], -v[56:57]
	v_mul_f64 v[80:81], v[102:103], v[26:27]
	v_fma_f64 v[78:79], v[102:103], v[24:25], v[78:79]
	v_mul_f64 v[58:59], v[84:85], v[42:43]
	v_mul_f64 v[60:61], v[82:83], v[42:43]
	v_fma_f64 v[58:59], v[82:83], v[40:41], v[58:59]
	v_fma_f64 v[60:61], v[84:85], v[40:41], -v[60:61]
	v_fma_f64 v[3:4], v[76:77], v[20:21], -v[3:4]
	v_mul_f64 v[76:77], v[98:99], v[14:15]
	buffer_store_dword v12, off, s[48:51], 0 offset:16 ; 4-byte Folded Spill
	s_nop 0
	buffer_store_dword v13, off, s[48:51], 0 offset:20 ; 4-byte Folded Spill
	buffer_store_dword v14, off, s[48:51], 0 offset:24 ; 4-byte Folded Spill
	;; [unrolled: 1-line block ×4, first 2 shown]
	s_nop 0
	buffer_store_dword v25, off, s[48:51], 0 offset:68 ; 4-byte Folded Spill
	buffer_store_dword v26, off, s[48:51], 0 offset:72 ; 4-byte Folded Spill
	;; [unrolled: 1-line block ×3, first 2 shown]
	v_fma_f64 v[64:65], v[88:89], v[114:115], -v[64:65]
	v_fma_f64 v[68:69], v[92:93], v[32:33], -v[68:69]
	;; [unrolled: 1-line block ×5, first 2 shown]
	ds_write_b128 v232, v[1:4] offset:1120
	ds_write_b128 v232, v[54:57] offset:1344
	;; [unrolled: 1-line block ×8, first 2 shown]
	s_and_saveexec_b64 s[2:3], vcc
	s_cbranch_execz .LBB0_3
; %bb.2:
	v_mov_b32_e32 v1, 0xd0
	v_mad_u64_u32 v[1:2], s[6:7], s0, v1, v[52:53]
	s_mul_i32 s6, s1, 0xd0
	s_load_dwordx4 s[12:15], s[20:21], 0xd0
	v_add_u32_e32 v2, s6, v2
	global_load_dwordx4 v[1:4], v[1:2], off
	s_waitcnt vmcnt(0) lgkmcnt(0)
	v_mul_f64 v[54:55], v[3:4], s[14:15]
	v_fma_f64 v[54:55], v[1:2], s[12:13], v[54:55]
	v_mul_f64 v[1:2], v[1:2], s[14:15]
	v_fma_f64 v[56:57], v[3:4], s[12:13], -v[1:2]
	v_mov_b32_e32 v1, 0x1b0
	v_mad_u64_u32 v[1:2], s[6:7], s0, v1, v[52:53]
	s_mul_i32 s6, s1, 0x1b0
	s_load_dwordx4 s[12:15], s[20:21], 0x1b0
	v_add_u32_e32 v2, s6, v2
	global_load_dwordx4 v[1:4], v[1:2], off
	ds_write_b128 v255, v[54:57] offset:208
	s_waitcnt vmcnt(0) lgkmcnt(0)
	v_mul_f64 v[54:55], v[3:4], s[14:15]
	v_fma_f64 v[54:55], v[1:2], s[12:13], v[54:55]
	v_mul_f64 v[1:2], v[1:2], s[14:15]
	v_fma_f64 v[56:57], v[3:4], s[12:13], -v[1:2]
	v_mov_b32_e32 v1, 0x290
	v_mad_u64_u32 v[1:2], s[6:7], s0, v1, v[52:53]
	s_mul_i32 s6, s1, 0x290
	s_load_dwordx4 s[12:15], s[20:21], 0x290
	v_add_u32_e32 v2, s6, v2
	global_load_dwordx4 v[1:4], v[1:2], off
	ds_write_b128 v255, v[54:57] offset:432
	;; [unrolled: 12-line block ×12, first 2 shown]
	s_waitcnt vmcnt(0) lgkmcnt(0)
	v_mul_f64 v[52:53], v[3:4], s[14:15]
	v_fma_f64 v[52:53], v[1:2], s[12:13], v[52:53]
	v_mul_f64 v[1:2], v[1:2], s[14:15]
	v_fma_f64 v[54:55], v[3:4], s[12:13], -v[1:2]
	ds_write_b128 v255, v[52:55] offset:2896
.LBB0_3:
	s_or_b64 exec, exec, s[2:3]
	s_waitcnt lgkmcnt(0)
	; wave barrier
	s_waitcnt lgkmcnt(0)
	ds_read_b128 v[84:87], v232
	ds_read_b128 v[152:155], v232 offset:224
	ds_read_b128 v[88:91], v232 offset:448
	;; [unrolled: 1-line block ×12, first 2 shown]
	s_load_dwordx2 s[2:3], s[4:5], 0x8
	v_add_co_u32_e64 v204, s[0:1], s20, v5
	v_addc_co_u32_e64 v205, s[0:1], 0, v0, s[0:1]
                                        ; implicit-def: $vgpr100_vgpr101
                                        ; implicit-def: $vgpr104_vgpr105
                                        ; implicit-def: $vgpr108_vgpr109
                                        ; implicit-def: $vgpr112_vgpr113
                                        ; implicit-def: $vgpr116_vgpr117
                                        ; implicit-def: $vgpr120_vgpr121
                                        ; implicit-def: $vgpr124_vgpr125
                                        ; implicit-def: $vgpr128_vgpr129
                                        ; implicit-def: $vgpr132_vgpr133
                                        ; implicit-def: $vgpr140_vgpr141
                                        ; implicit-def: $vgpr144_vgpr145
                                        ; implicit-def: $vgpr148_vgpr149
                                        ; implicit-def: $vgpr136_vgpr137
	s_and_saveexec_b64 s[0:1], vcc
	s_cbranch_execz .LBB0_5
; %bb.4:
	ds_read_b128 v[100:103], v255 offset:208
	ds_read_b128 v[104:107], v255 offset:432
	;; [unrolled: 1-line block ×13, first 2 shown]
.LBB0_5:
	s_or_b64 exec, exec, s[0:1]
	s_waitcnt lgkmcnt(0)
	v_add_f64 v[0:1], v[84:85], v[152:153]
	v_add_f64 v[2:3], v[86:87], v[154:155]
	v_add_f64 v[160:161], v[152:153], -v[96:97]
	v_add_f64 v[162:163], v[154:155], -v[98:99]
	s_mov_b32 s44, 0x4267c47c
	s_mov_b32 s14, 0x2ef20147
	;; [unrolled: 1-line block ×4, first 2 shown]
	v_add_f64 v[0:1], v[0:1], v[88:89]
	v_add_f64 v[2:3], v[2:3], v[90:91]
	v_add_f64 v[156:157], v[152:153], v[96:97]
	v_add_f64 v[158:159], v[154:155], v[98:99]
	v_mul_f64 v[152:153], v[162:163], s[44:45]
	v_mul_f64 v[174:175], v[160:161], s[14:15]
	s_mov_b32 s6, 0xe00740e9
	s_mov_b32 s12, 0xb2365da1
	v_add_f64 v[0:1], v[0:1], v[76:77]
	v_add_f64 v[2:3], v[2:3], v[78:79]
	s_mov_b32 s18, 0x24c2f84
	s_mov_b32 s7, 0x3fec55a7
	;; [unrolled: 1-line block ×4, first 2 shown]
	v_mul_f64 v[176:177], v[162:163], s[18:19]
	v_mul_f64 v[178:179], v[160:161], s[18:19]
	v_add_f64 v[0:1], v[0:1], v[68:69]
	v_add_f64 v[2:3], v[2:3], v[70:71]
	v_fma_f64 v[180:181], v[156:157], s[6:7], -v[152:153]
	v_fma_f64 v[152:153], v[156:157], s[6:7], v[152:153]
	v_fma_f64 v[194:195], v[158:159], s[12:13], v[174:175]
	v_fma_f64 v[174:175], v[158:159], s[12:13], -v[174:175]
	s_mov_b32 s16, 0xd0032e0c
	s_mov_b32 s17, 0xbfe7f3cc
	v_add_f64 v[0:1], v[0:1], v[60:61]
	v_add_f64 v[2:3], v[2:3], v[62:63]
	v_mul_f64 v[154:155], v[160:161], s[44:45]
	v_mul_f64 v[172:173], v[162:163], s[14:15]
	v_fma_f64 v[196:197], v[156:157], s[16:17], -v[176:177]
	v_fma_f64 v[198:199], v[158:159], s[16:17], v[178:179]
	v_add_f64 v[200:201], v[84:85], v[152:153]
	s_mov_b32 s24, 0x42a4c3d2
	v_add_f64 v[0:1], v[0:1], v[52:53]
	v_add_f64 v[2:3], v[2:3], v[54:55]
	s_mov_b32 s34, 0x66966769
	s_mov_b32 s26, 0x4bc48dbf
	;; [unrolled: 1-line block ×5, first 2 shown]
	v_mul_f64 v[164:165], v[162:163], s[24:25]
	v_add_f64 v[0:1], v[0:1], v[56:57]
	v_add_f64 v[2:3], v[2:3], v[58:59]
	v_mul_f64 v[166:167], v[160:161], s[24:25]
	v_mul_f64 v[168:169], v[162:163], s[34:35]
	;; [unrolled: 1-line block ×3, first 2 shown]
	v_fma_f64 v[182:183], v[158:159], s[6:7], v[154:155]
	v_fma_f64 v[154:155], v[158:159], s[6:7], -v[154:155]
	v_fma_f64 v[192:193], v[156:157], s[12:13], -v[172:173]
	v_add_f64 v[0:1], v[0:1], v[64:65]
	v_add_f64 v[2:3], v[2:3], v[66:67]
	v_fma_f64 v[172:173], v[156:157], s[12:13], v[172:173]
	v_mul_f64 v[162:163], v[162:163], s[26:27]
	v_mul_f64 v[160:161], v[160:161], s[26:27]
	s_mov_b32 s4, 0x1ea71119
	s_mov_b32 s0, 0xebaa3ed8
	;; [unrolled: 1-line block ×3, first 2 shown]
	v_add_f64 v[0:1], v[0:1], v[72:73]
	v_add_f64 v[2:3], v[2:3], v[74:75]
	s_mov_b32 s5, 0x3fe22d96
	s_mov_b32 s1, 0x3fbedb7d
	;; [unrolled: 1-line block ×3, first 2 shown]
	v_fma_f64 v[184:185], v[156:157], s[4:5], -v[164:165]
	v_fma_f64 v[186:187], v[158:159], s[4:5], v[166:167]
	v_fma_f64 v[164:165], v[156:157], s[4:5], v[164:165]
	v_add_f64 v[0:1], v[0:1], v[80:81]
	v_add_f64 v[2:3], v[2:3], v[82:83]
	v_fma_f64 v[166:167], v[158:159], s[4:5], -v[166:167]
	v_fma_f64 v[188:189], v[156:157], s[0:1], -v[168:169]
	v_fma_f64 v[190:191], v[158:159], s[0:1], v[170:171]
	v_fma_f64 v[168:169], v[156:157], s[0:1], v[168:169]
	v_fma_f64 v[170:171], v[158:159], s[0:1], -v[170:171]
	v_add_f64 v[180:181], v[84:85], v[180:181]
	v_add_f64 v[0:1], v[0:1], v[92:93]
	;; [unrolled: 1-line block ×11, first 2 shown]
	v_fma_f64 v[174:175], v[156:157], s[16:17], v[176:177]
	v_fma_f64 v[176:177], v[158:159], s[16:17], -v[178:179]
	v_add_f64 v[178:179], v[90:91], -v[94:95]
	v_add_f64 v[0:1], v[86:87], v[194:195]
	v_add_f64 v[194:195], v[88:89], -v[92:93]
	v_add_f64 v[88:89], v[88:89], v[92:93]
	v_add_f64 v[154:155], v[2:3], v[98:99]
	;; [unrolled: 1-line block ×5, first 2 shown]
	v_mul_f64 v[92:93], v[178:179], s[24:25]
	v_add_f64 v[90:91], v[90:91], v[94:95]
	v_mul_f64 v[94:95], v[194:195], s[24:25]
	v_fma_f64 v[196:197], v[156:157], s[28:29], -v[162:163]
	v_fma_f64 v[198:199], v[158:159], s[28:29], v[160:161]
	v_fma_f64 v[156:157], v[156:157], s[28:29], v[162:163]
	v_fma_f64 v[158:159], v[158:159], s[28:29], -v[160:161]
	v_add_f64 v[160:161], v[84:85], v[174:175]
	v_fma_f64 v[174:175], v[88:89], s[4:5], -v[92:93]
	v_add_f64 v[192:193], v[84:85], v[192:193]
	v_add_f64 v[162:163], v[86:87], v[176:177]
	v_fma_f64 v[176:177], v[90:91], s[4:5], v[94:95]
	v_add_f64 v[196:197], v[84:85], v[196:197]
	v_add_f64 v[84:85], v[84:85], v[156:157]
	v_mul_f64 v[156:157], v[178:179], s[14:15]
	v_add_f64 v[186:187], v[86:87], v[186:187]
	v_add_f64 v[174:175], v[174:175], v[180:181]
	v_mul_f64 v[180:181], v[178:179], s[26:27]
	v_add_f64 v[166:167], v[86:87], v[166:167]
	v_add_f64 v[190:191], v[86:87], v[190:191]
	;; [unrolled: 1-line block ×5, first 2 shown]
	v_mul_f64 v[158:159], v[194:195], s[14:15]
	v_add_f64 v[176:177], v[176:177], v[182:183]
	v_mul_f64 v[182:183], v[194:195], s[26:27]
	v_fma_f64 v[206:207], v[88:89], s[12:13], -v[156:157]
	v_fma_f64 v[156:157], v[88:89], s[12:13], v[156:157]
	v_fma_f64 v[210:211], v[88:89], s[28:29], -v[180:181]
	s_mov_b32 s39, 0x3fe5384d
	s_mov_b32 s38, s18
	v_fma_f64 v[208:209], v[90:91], s[12:13], v[158:159]
	v_fma_f64 v[158:159], v[90:91], s[12:13], -v[158:159]
	v_fma_f64 v[212:213], v[90:91], s[28:29], v[182:183]
	v_fma_f64 v[182:183], v[90:91], s[28:29], -v[182:183]
	v_add_f64 v[156:157], v[156:157], v[164:165]
	v_add_f64 v[164:165], v[210:211], v[188:189]
	v_mul_f64 v[188:189], v[178:179], s[38:39]
	v_fma_f64 v[92:93], v[88:89], s[4:5], v[92:93]
	v_add_f64 v[184:185], v[206:207], v[184:185]
	v_add_f64 v[158:159], v[158:159], v[166:167]
	;; [unrolled: 1-line block ×3, first 2 shown]
	v_mul_f64 v[190:191], v[194:195], s[38:39]
	v_add_f64 v[170:171], v[182:183], v[170:171]
	v_add_f64 v[182:183], v[78:79], -v[82:83]
	v_fma_f64 v[206:207], v[88:89], s[16:17], -v[188:189]
	v_fma_f64 v[188:189], v[88:89], s[16:17], v[188:189]
	s_mov_b32 s31, 0x3fefc445
	s_mov_b32 s30, s34
	;; [unrolled: 1-line block ×4, first 2 shown]
	v_fma_f64 v[94:95], v[90:91], s[4:5], -v[94:95]
	v_add_f64 v[92:93], v[92:93], v[200:201]
	v_add_f64 v[186:187], v[208:209], v[186:187]
	v_mul_f64 v[200:201], v[178:179], s[30:31]
	v_fma_f64 v[180:181], v[88:89], s[28:29], v[180:181]
	v_fma_f64 v[208:209], v[90:91], s[16:17], v[190:191]
	v_fma_f64 v[190:191], v[90:91], s[16:17], -v[190:191]
	v_add_f64 v[2:3], v[188:189], v[2:3]
	v_add_f64 v[188:189], v[76:77], -v[80:81]
	v_mul_f64 v[178:179], v[178:179], s[36:37]
	v_add_f64 v[76:77], v[76:77], v[80:81]
	v_mul_f64 v[80:81], v[182:183], s[34:35]
	v_add_f64 v[94:95], v[94:95], v[202:203]
	v_mul_f64 v[202:203], v[194:195], s[30:31]
	v_fma_f64 v[210:211], v[88:89], s[0:1], -v[200:201]
	v_add_f64 v[168:169], v[180:181], v[168:169]
	v_add_f64 v[180:181], v[206:207], v[192:193]
	;; [unrolled: 1-line block ×3, first 2 shown]
	v_mul_f64 v[190:191], v[194:195], s[36:37]
	v_add_f64 v[78:79], v[78:79], v[82:83]
	v_mul_f64 v[82:83], v[188:189], s[34:35]
	v_fma_f64 v[192:193], v[88:89], s[0:1], v[200:201]
	v_fma_f64 v[200:201], v[88:89], s[6:7], -v[178:179]
	v_fma_f64 v[88:89], v[88:89], s[6:7], v[178:179]
	v_fma_f64 v[178:179], v[76:77], s[0:1], -v[80:81]
	;; [unrolled: 2-line block ×4, first 2 shown]
	v_fma_f64 v[190:191], v[78:79], s[0:1], v[82:83]
	v_add_f64 v[160:161], v[192:193], v[160:161]
	v_add_f64 v[84:85], v[88:89], v[84:85]
	;; [unrolled: 1-line block ×3, first 2 shown]
	v_mul_f64 v[174:175], v[182:183], s[26:27]
	v_add_f64 v[192:193], v[200:201], v[196:197]
	s_mov_b32 s47, 0x3fedeba7
	v_add_f64 v[86:87], v[90:91], v[86:87]
	v_add_f64 v[90:91], v[190:191], v[176:177]
	v_mul_f64 v[176:177], v[188:189], s[26:27]
	s_mov_b32 s46, s14
	v_add_f64 v[162:163], v[194:195], v[162:163]
	v_fma_f64 v[196:197], v[76:77], s[28:29], -v[174:175]
	v_fma_f64 v[174:175], v[76:77], s[28:29], v[174:175]
	v_add_f64 v[194:195], v[202:203], v[198:199]
	v_fma_f64 v[80:81], v[76:77], s[0:1], v[80:81]
	v_fma_f64 v[82:83], v[78:79], s[0:1], -v[82:83]
	v_mul_f64 v[178:179], v[182:183], s[46:47]
	v_mul_f64 v[190:191], v[188:189], s[46:47]
	v_fma_f64 v[198:199], v[78:79], s[28:29], v[176:177]
	v_fma_f64 v[176:177], v[78:79], s[28:29], -v[176:177]
	v_add_f64 v[156:157], v[174:175], v[156:157]
	v_mul_f64 v[174:175], v[182:183], s[36:37]
	v_add_f64 v[80:81], v[80:81], v[92:93]
	v_add_f64 v[82:83], v[82:83], v[94:95]
	v_fma_f64 v[92:93], v[76:77], s[12:13], -v[178:179]
	v_fma_f64 v[94:95], v[78:79], s[12:13], v[190:191]
	v_add_f64 v[184:185], v[196:197], v[184:185]
	v_add_f64 v[158:159], v[176:177], v[158:159]
	v_mul_f64 v[176:177], v[188:189], s[36:37]
	v_fma_f64 v[178:179], v[76:77], s[12:13], v[178:179]
	v_fma_f64 v[196:197], v[76:77], s[6:7], -v[174:175]
	v_add_f64 v[186:187], v[198:199], v[186:187]
	v_add_f64 v[92:93], v[92:93], v[164:165]
	;; [unrolled: 1-line block ×3, first 2 shown]
	v_mul_f64 v[164:165], v[182:183], s[24:25]
	v_mul_f64 v[166:167], v[188:189], s[24:25]
	v_fma_f64 v[190:191], v[78:79], s[12:13], -v[190:191]
	v_fma_f64 v[198:199], v[78:79], s[6:7], v[176:177]
	v_fma_f64 v[176:177], v[78:79], s[6:7], -v[176:177]
	v_add_f64 v[168:169], v[178:179], v[168:169]
	v_add_f64 v[178:179], v[196:197], v[180:181]
	v_mul_f64 v[180:181], v[182:183], s[18:19]
	v_mul_f64 v[182:183], v[188:189], s[18:19]
	v_fma_f64 v[174:175], v[76:77], s[6:7], v[174:175]
	v_fma_f64 v[202:203], v[78:79], s[4:5], v[166:167]
	v_add_f64 v[170:171], v[190:191], v[170:171]
	v_add_f64 v[96:97], v[176:177], v[96:97]
	v_add_f64 v[176:177], v[68:69], -v[72:73]
	v_fma_f64 v[166:167], v[78:79], s[4:5], -v[166:167]
	v_fma_f64 v[200:201], v[76:77], s[4:5], -v[164:165]
	v_fma_f64 v[190:191], v[78:79], s[16:17], v[182:183]
	v_fma_f64 v[78:79], v[78:79], s[16:17], -v[182:183]
	v_add_f64 v[2:3], v[174:175], v[2:3]
	v_add_f64 v[174:175], v[70:71], -v[74:75]
	v_fma_f64 v[164:165], v[76:77], s[4:5], v[164:165]
	v_add_f64 v[70:71], v[70:71], v[74:75]
	v_mul_f64 v[74:75], v[176:177], s[14:15]
	v_fma_f64 v[188:189], v[76:77], s[16:17], -v[180:181]
	v_fma_f64 v[76:77], v[76:77], s[16:17], v[180:181]
	v_add_f64 v[78:79], v[78:79], v[86:87]
	v_mul_f64 v[86:87], v[176:177], s[38:39]
	v_add_f64 v[68:69], v[68:69], v[72:73]
	v_add_f64 v[162:163], v[166:167], v[162:163]
	;; [unrolled: 1-line block ×3, first 2 shown]
	v_fma_f64 v[166:167], v[70:71], s[12:13], v[74:75]
	v_mul_f64 v[72:73], v[174:175], s[14:15]
	v_add_f64 v[76:77], v[76:77], v[84:85]
	v_mul_f64 v[84:85], v[174:175], s[38:39]
	v_fma_f64 v[190:191], v[70:71], s[16:17], v[86:87]
	v_fma_f64 v[86:87], v[70:71], s[16:17], -v[86:87]
	v_add_f64 v[180:181], v[188:189], v[192:193]
	v_fma_f64 v[74:75], v[70:71], s[12:13], -v[74:75]
	v_add_f64 v[90:91], v[166:167], v[90:91]
	v_mul_f64 v[166:167], v[176:177], s[36:37]
	s_mov_b32 s43, 0x3fcea1e5
	v_fma_f64 v[188:189], v[68:69], s[16:17], -v[84:85]
	v_fma_f64 v[84:85], v[68:69], s[16:17], v[84:85]
	v_add_f64 v[86:87], v[86:87], v[158:159]
	v_mul_f64 v[158:159], v[176:177], s[34:35]
	s_mov_b32 s42, s26
	v_add_f64 v[172:173], v[212:213], v[172:173]
	v_add_f64 v[160:161], v[164:165], v[160:161]
	v_fma_f64 v[164:165], v[68:69], s[12:13], -v[72:73]
	v_fma_f64 v[72:73], v[68:69], s[12:13], v[72:73]
	v_fma_f64 v[194:195], v[70:71], s[6:7], v[166:167]
	v_add_f64 v[74:75], v[74:75], v[82:83]
	v_add_f64 v[82:83], v[190:191], v[186:187]
	;; [unrolled: 1-line block ×3, first 2 shown]
	v_mul_f64 v[156:157], v[174:175], s[34:35]
	v_mul_f64 v[186:187], v[176:177], s[42:43]
	v_fma_f64 v[190:191], v[70:71], s[0:1], v[158:159]
	v_fma_f64 v[158:159], v[70:71], s[0:1], -v[158:159]
	v_add_f64 v[172:173], v[202:203], v[172:173]
	v_add_f64 v[88:89], v[164:165], v[88:89]
	v_mul_f64 v[164:165], v[174:175], s[36:37]
	v_add_f64 v[72:73], v[72:73], v[80:81]
	v_add_f64 v[80:81], v[188:189], v[184:185]
	v_add_f64 v[94:95], v[194:195], v[94:95]
	v_fma_f64 v[166:167], v[70:71], s[6:7], -v[166:167]
	v_fma_f64 v[188:189], v[68:69], s[0:1], -v[156:157]
	v_fma_f64 v[156:157], v[68:69], s[0:1], v[156:157]
	v_fma_f64 v[194:195], v[70:71], s[28:29], v[186:187]
	v_add_f64 v[96:97], v[158:159], v[96:97]
	v_add_f64 v[158:159], v[62:63], -v[66:67]
	s_mov_b32 s41, 0x3fea55e2
	s_mov_b32 s40, s24
	v_fma_f64 v[192:193], v[68:69], s[6:7], -v[164:165]
	v_mul_f64 v[184:185], v[174:175], s[42:43]
	v_fma_f64 v[164:165], v[68:69], s[6:7], v[164:165]
	v_add_f64 v[166:167], v[166:167], v[170:171]
	v_add_f64 v[2:3], v[156:157], v[2:3]
	;; [unrolled: 1-line block ×3, first 2 shown]
	v_add_f64 v[170:171], v[60:61], -v[64:65]
	v_mul_f64 v[172:173], v[174:175], s[40:41]
	v_mul_f64 v[174:175], v[176:177], s[40:41]
	v_add_f64 v[60:61], v[60:61], v[64:65]
	v_mul_f64 v[64:65], v[158:159], s[18:19]
	v_add_f64 v[92:93], v[192:193], v[92:93]
	v_fma_f64 v[192:193], v[68:69], s[28:29], -v[184:185]
	v_add_f64 v[164:165], v[164:165], v[168:169]
	v_add_f64 v[168:169], v[188:189], v[178:179]
	v_fma_f64 v[176:177], v[68:69], s[28:29], v[184:185]
	v_fma_f64 v[178:179], v[70:71], s[28:29], -v[186:187]
	v_add_f64 v[62:63], v[62:63], v[66:67]
	v_mul_f64 v[66:67], v[170:171], s[18:19]
	v_fma_f64 v[184:185], v[68:69], s[4:5], -v[172:173]
	v_fma_f64 v[186:187], v[70:71], s[4:5], v[174:175]
	v_fma_f64 v[68:69], v[68:69], s[4:5], v[172:173]
	v_fma_f64 v[70:71], v[70:71], s[4:5], -v[174:175]
	v_fma_f64 v[172:173], v[60:61], s[16:17], -v[64:65]
	v_fma_f64 v[64:65], v[60:61], s[16:17], v[64:65]
	v_add_f64 v[98:99], v[210:211], v[98:99]
	v_fma_f64 v[174:175], v[62:63], s[16:17], v[66:67]
	v_add_f64 v[160:161], v[176:177], v[160:161]
	v_add_f64 v[162:163], v[178:179], v[162:163]
	;; [unrolled: 1-line block ×4, first 2 shown]
	v_mul_f64 v[76:77], v[158:159], s[30:31]
	v_mul_f64 v[78:79], v[170:171], s[30:31]
	v_add_f64 v[88:89], v[172:173], v[88:89]
	v_mul_f64 v[172:173], v[158:159], s[24:25]
	v_add_f64 v[176:177], v[184:185], v[180:181]
	v_add_f64 v[178:179], v[186:187], v[182:183]
	;; [unrolled: 1-line block ×3, first 2 shown]
	v_fma_f64 v[66:67], v[62:63], s[16:17], -v[66:67]
	v_mul_f64 v[174:175], v[170:171], s[24:25]
	v_fma_f64 v[180:181], v[60:61], s[0:1], -v[76:77]
	v_fma_f64 v[182:183], v[62:63], s[0:1], v[78:79]
	v_fma_f64 v[76:77], v[60:61], s[0:1], v[76:77]
	v_fma_f64 v[78:79], v[62:63], s[0:1], -v[78:79]
	v_add_f64 v[64:65], v[64:65], v[72:73]
	v_fma_f64 v[72:73], v[60:61], s[4:5], -v[172:173]
	v_add_f64 v[98:99], v[200:201], v[98:99]
	v_add_f64 v[66:67], v[66:67], v[74:75]
	v_fma_f64 v[74:75], v[62:63], s[4:5], v[174:175]
	v_add_f64 v[80:81], v[180:181], v[80:81]
	v_add_f64 v[76:77], v[76:77], v[84:85]
	v_add_f64 v[78:79], v[78:79], v[86:87]
	v_mul_f64 v[84:85], v[158:159], s[42:43]
	v_mul_f64 v[86:87], v[170:171], s[42:43]
	v_add_f64 v[72:73], v[72:73], v[92:93]
	v_mul_f64 v[92:93], v[158:159], s[36:37]
	v_add_f64 v[98:99], v[192:193], v[98:99]
	v_add_f64 v[82:83], v[182:183], v[82:83]
	;; [unrolled: 1-line block ×3, first 2 shown]
	v_mul_f64 v[94:95], v[170:171], s[36:37]
	v_fma_f64 v[180:181], v[60:61], s[28:29], -v[84:85]
	v_fma_f64 v[182:183], v[62:63], s[28:29], v[86:87]
	v_fma_f64 v[84:85], v[60:61], s[28:29], v[84:85]
	v_fma_f64 v[86:87], v[62:63], s[28:29], -v[86:87]
	v_fma_f64 v[184:185], v[60:61], s[6:7], -v[92:93]
	v_add_f64 v[192:193], v[52:53], -v[56:57]
	v_fma_f64 v[172:173], v[60:61], s[4:5], v[172:173]
	v_fma_f64 v[186:187], v[62:63], s[6:7], v[94:95]
	v_fma_f64 v[174:175], v[62:63], s[4:5], -v[174:175]
	v_add_f64 v[52:53], v[52:53], v[56:57]
	v_add_f64 v[2:3], v[84:85], v[2:3]
	;; [unrolled: 1-line block ×4, first 2 shown]
	v_add_f64 v[98:99], v[54:55], -v[58:59]
	v_add_f64 v[54:55], v[54:55], v[58:59]
	v_add_f64 v[96:97], v[186:187], v[156:157]
	v_mul_f64 v[156:157], v[158:159], s[14:15]
	v_mul_f64 v[158:159], v[170:171], s[14:15]
	;; [unrolled: 1-line block ×3, first 2 shown]
	v_add_f64 v[0:1], v[208:209], v[0:1]
	v_add_f64 v[172:173], v[172:173], v[164:165]
	v_mul_f64 v[56:57], v[98:99], s[26:27]
	v_add_f64 v[174:175], v[174:175], v[166:167]
	v_fma_f64 v[92:93], v[60:61], s[6:7], v[92:93]
	v_fma_f64 v[94:95], v[62:63], s[6:7], -v[94:95]
	v_fma_f64 v[164:165], v[60:61], s[12:13], -v[156:157]
	v_fma_f64 v[166:167], v[62:63], s[12:13], v[158:159]
	v_fma_f64 v[60:61], v[60:61], s[12:13], v[156:157]
	v_fma_f64 v[62:63], v[62:63], s[12:13], -v[158:159]
	v_fma_f64 v[156:157], v[52:53], s[28:29], -v[56:57]
	v_fma_f64 v[158:159], v[54:55], s[28:29], v[58:59]
	v_add_f64 v[0:1], v[198:199], v[0:1]
	v_fma_f64 v[56:57], v[52:53], s[28:29], v[56:57]
	v_add_f64 v[196:197], v[164:165], v[176:177]
	v_add_f64 v[198:199], v[166:167], v[178:179]
	v_fma_f64 v[58:59], v[54:55], s[28:29], -v[58:59]
	v_add_f64 v[60:61], v[60:61], v[68:69]
	v_add_f64 v[164:165], v[156:157], v[88:89]
	v_add_f64 v[166:167], v[158:159], v[90:91]
	v_mul_f64 v[88:89], v[98:99], s[18:19]
	v_mul_f64 v[90:91], v[192:193], s[18:19]
	v_add_f64 v[0:1], v[190:191], v[0:1]
	v_add_f64 v[62:63], v[62:63], v[70:71]
	v_mul_f64 v[68:69], v[98:99], s[36:37]
	v_mul_f64 v[70:71], v[192:193], s[36:37]
	v_add_f64 v[156:157], v[56:57], v[64:65]
	v_add_f64 v[158:159], v[58:59], v[66:67]
	v_fma_f64 v[56:57], v[52:53], s[16:17], -v[88:89]
	v_fma_f64 v[58:59], v[54:55], s[16:17], v[90:91]
	v_mul_f64 v[64:65], v[98:99], s[40:41]
	v_mul_f64 v[66:67], v[192:193], s[40:41]
	v_add_f64 v[180:181], v[180:181], v[168:169]
	v_add_f64 v[0:1], v[182:183], v[0:1]
	;; [unrolled: 1-line block ×4, first 2 shown]
	v_fma_f64 v[160:161], v[52:53], s[6:7], -v[68:69]
	v_fma_f64 v[162:163], v[54:55], s[6:7], v[70:71]
	v_fma_f64 v[68:69], v[52:53], s[6:7], v[68:69]
	v_fma_f64 v[70:71], v[54:55], s[6:7], -v[70:71]
	v_add_f64 v[176:177], v[56:57], v[72:73]
	v_add_f64 v[178:179], v[58:59], v[74:75]
	v_mul_f64 v[56:57], v[98:99], s[14:15]
	v_mul_f64 v[58:59], v[192:193], s[14:15]
	v_fma_f64 v[72:73], v[52:53], s[4:5], -v[64:65]
	v_fma_f64 v[74:75], v[54:55], s[4:5], v[66:67]
	v_fma_f64 v[64:65], v[52:53], s[4:5], v[64:65]
	v_fma_f64 v[66:67], v[54:55], s[4:5], -v[66:67]
	v_add_f64 v[168:169], v[160:161], v[80:81]
	v_add_f64 v[170:171], v[162:163], v[82:83]
	;; [unrolled: 1-line block ×4, first 2 shown]
	v_fma_f64 v[68:69], v[52:53], s[16:17], v[88:89]
	v_fma_f64 v[70:71], v[54:55], s[16:17], -v[90:91]
	v_fma_f64 v[76:77], v[52:53], s[12:13], -v[56:57]
	v_fma_f64 v[78:79], v[54:55], s[12:13], v[58:59]
	v_add_f64 v[188:189], v[72:73], v[180:181]
	v_add_f64 v[190:191], v[74:75], v[0:1]
	;; [unrolled: 1-line block ×4, first 2 shown]
	v_add_f64 v[0:1], v[106:107], -v[138:139]
	v_add_f64 v[2:3], v[104:105], -v[136:137]
	v_mul_f64 v[64:65], v[98:99], s[30:31]
	v_mul_f64 v[66:67], v[192:193], s[30:31]
	v_add_f64 v[172:173], v[68:69], v[172:173]
	v_add_f64 v[174:175], v[70:71], v[174:175]
	;; [unrolled: 1-line block ×4, first 2 shown]
	v_fma_f64 v[56:57], v[52:53], s[12:13], v[56:57]
	v_fma_f64 v[58:59], v[54:55], s[12:13], -v[58:59]
	v_add_f64 v[68:69], v[104:105], v[136:137]
	v_add_f64 v[70:71], v[106:107], v[138:139]
	v_mul_f64 v[72:73], v[0:1], s[44:45]
	v_mul_f64 v[74:75], v[2:3], s[44:45]
	v_fma_f64 v[76:77], v[52:53], s[0:1], -v[64:65]
	v_fma_f64 v[78:79], v[54:55], s[0:1], v[66:67]
	v_fma_f64 v[52:53], v[52:53], s[0:1], v[64:65]
	v_fma_f64 v[54:55], v[54:55], s[0:1], -v[66:67]
	v_mul_f64 v[84:85], v[0:1], s[18:19]
	v_mul_f64 v[86:87], v[2:3], s[18:19]
	v_add_f64 v[96:97], v[110:111], -v[150:151]
	v_add_f64 v[98:99], v[108:109], -v[148:149]
	v_add_f64 v[192:193], v[56:57], v[92:93]
	v_add_f64 v[194:195], v[58:59], v[94:95]
	v_fma_f64 v[56:57], v[68:69], s[6:7], -v[72:73]
	v_fma_f64 v[58:59], v[70:71], s[6:7], v[74:75]
	v_add_f64 v[200:201], v[76:77], v[196:197]
	v_add_f64 v[202:203], v[78:79], v[198:199]
	;; [unrolled: 1-line block ×4, first 2 shown]
	v_mul_f64 v[52:53], v[0:1], s[24:25]
	v_mul_f64 v[54:55], v[2:3], s[24:25]
	;; [unrolled: 1-line block ×6, first 2 shown]
	v_fma_f64 v[92:93], v[68:69], s[16:17], -v[84:85]
	v_fma_f64 v[94:95], v[70:71], s[16:17], v[86:87]
	v_mul_f64 v[0:1], v[0:1], s[26:27]
	v_mul_f64 v[2:3], v[2:3], s[26:27]
	v_fma_f64 v[84:85], v[68:69], s[16:17], v[84:85]
	v_fma_f64 v[86:87], v[70:71], s[16:17], -v[86:87]
	v_add_f64 v[206:207], v[108:109], v[148:149]
	v_add_f64 v[208:209], v[110:111], v[150:151]
	v_mul_f64 v[210:211], v[96:97], s[24:25]
	v_mul_f64 v[212:213], v[98:99], s[24:25]
	v_add_f64 v[56:57], v[100:101], v[56:57]
	v_add_f64 v[58:59], v[102:103], v[58:59]
	v_fma_f64 v[60:61], v[68:69], s[6:7], v[72:73]
	v_fma_f64 v[62:63], v[70:71], s[6:7], -v[74:75]
	v_fma_f64 v[72:73], v[68:69], s[4:5], -v[52:53]
	v_fma_f64 v[74:75], v[70:71], s[4:5], v[54:55]
	v_fma_f64 v[52:53], v[68:69], s[4:5], v[52:53]
	v_fma_f64 v[54:55], v[70:71], s[4:5], -v[54:55]
	v_fma_f64 v[76:77], v[68:69], s[0:1], -v[64:65]
	v_fma_f64 v[78:79], v[70:71], s[0:1], v[66:67]
	;; [unrolled: 4-line block ×4, first 2 shown]
	v_fma_f64 v[0:1], v[68:69], s[28:29], v[0:1]
	v_fma_f64 v[2:3], v[70:71], s[28:29], -v[2:3]
	v_add_f64 v[68:69], v[100:101], v[84:85]
	v_add_f64 v[70:71], v[102:103], v[86:87]
	v_fma_f64 v[84:85], v[206:207], s[4:5], -v[210:211]
	v_fma_f64 v[86:87], v[208:209], s[4:5], v[212:213]
	v_add_f64 v[60:61], v[100:101], v[60:61]
	v_add_f64 v[62:63], v[102:103], v[62:63]
	v_mul_f64 v[218:219], v[96:97], s[14:15]
	v_mul_f64 v[220:221], v[98:99], s[14:15]
	v_add_f64 v[52:53], v[100:101], v[52:53]
	v_add_f64 v[54:55], v[102:103], v[54:55]
	;; [unrolled: 1-line block ×4, first 2 shown]
	v_fma_f64 v[84:85], v[206:207], s[4:5], v[210:211]
	v_fma_f64 v[86:87], v[208:209], s[4:5], -v[212:213]
	v_mul_f64 v[210:211], v[96:97], s[26:27]
	v_mul_f64 v[212:213], v[98:99], s[26:27]
	v_add_f64 v[76:77], v[100:101], v[76:77]
	v_add_f64 v[78:79], v[102:103], v[78:79]
	v_fma_f64 v[222:223], v[206:207], s[12:13], -v[218:219]
	v_fma_f64 v[224:225], v[208:209], s[12:13], v[220:221]
	v_fma_f64 v[218:219], v[206:207], s[12:13], v[218:219]
	v_fma_f64 v[220:221], v[208:209], s[12:13], -v[220:221]
	v_add_f64 v[60:61], v[84:85], v[60:61]
	v_add_f64 v[62:63], v[86:87], v[62:63]
	v_fma_f64 v[84:85], v[206:207], s[28:29], -v[210:211]
	v_fma_f64 v[86:87], v[208:209], s[28:29], v[212:213]
	v_add_f64 v[72:73], v[100:101], v[72:73]
	v_add_f64 v[74:75], v[102:103], v[74:75]
	;; [unrolled: 1-line block ×6, first 2 shown]
	v_mul_f64 v[218:219], v[96:97], s[38:39]
	v_mul_f64 v[220:221], v[98:99], s[38:39]
	v_add_f64 v[76:77], v[84:85], v[76:77]
	v_add_f64 v[78:79], v[86:87], v[78:79]
	v_mul_f64 v[84:85], v[96:97], s[30:31]
	v_mul_f64 v[86:87], v[98:99], s[30:31]
	v_fma_f64 v[210:211], v[206:207], s[28:29], v[210:211]
	v_fma_f64 v[212:213], v[208:209], s[28:29], -v[212:213]
	v_add_f64 v[88:89], v[100:101], v[88:89]
	v_add_f64 v[90:91], v[102:103], v[90:91]
	;; [unrolled: 1-line block ×8, first 2 shown]
	v_fma_f64 v[222:223], v[206:207], s[16:17], -v[218:219]
	v_fma_f64 v[224:225], v[208:209], s[16:17], v[220:221]
	v_fma_f64 v[218:219], v[206:207], s[16:17], v[218:219]
	v_fma_f64 v[220:221], v[208:209], s[16:17], -v[220:221]
	v_fma_f64 v[226:227], v[206:207], s[0:1], -v[84:85]
	v_fma_f64 v[228:229], v[208:209], s[0:1], v[86:87]
	v_add_f64 v[64:65], v[210:211], v[64:65]
	v_add_f64 v[66:67], v[212:213], v[66:67]
	v_add_f64 v[210:211], v[114:115], -v[146:147]
	v_add_f64 v[212:213], v[112:113], -v[144:145]
	v_mul_f64 v[96:97], v[96:97], s[36:37]
	v_mul_f64 v[98:99], v[98:99], s[36:37]
	v_add_f64 v[0:1], v[100:101], v[0:1]
	v_add_f64 v[2:3], v[102:103], v[2:3]
	;; [unrolled: 1-line block ×8, first 2 shown]
	v_fma_f64 v[84:85], v[206:207], s[0:1], v[84:85]
	v_fma_f64 v[86:87], v[208:209], s[0:1], -v[86:87]
	v_add_f64 v[218:219], v[112:113], v[144:145]
	v_add_f64 v[220:221], v[114:115], v[146:147]
	v_mul_f64 v[222:223], v[210:211], s[34:35]
	v_mul_f64 v[224:225], v[212:213], s[34:35]
	v_fma_f64 v[226:227], v[206:207], s[6:7], -v[96:97]
	v_fma_f64 v[228:229], v[208:209], s[6:7], v[98:99]
	v_fma_f64 v[96:97], v[206:207], s[6:7], v[96:97]
	v_fma_f64 v[98:99], v[208:209], s[6:7], -v[98:99]
	v_add_f64 v[68:69], v[84:85], v[68:69]
	v_add_f64 v[70:71], v[86:87], v[70:71]
	v_fma_f64 v[84:85], v[218:219], s[0:1], -v[222:223]
	v_fma_f64 v[86:87], v[220:221], s[0:1], v[224:225]
	v_add_f64 v[214:215], v[100:101], v[214:215]
	v_add_f64 v[216:217], v[102:103], v[216:217]
	;; [unrolled: 1-line block ×4, first 2 shown]
	v_mul_f64 v[96:97], v[210:211], s[26:27]
	v_mul_f64 v[98:99], v[212:213], s[26:27]
	v_add_f64 v[56:57], v[84:85], v[56:57]
	v_add_f64 v[58:59], v[86:87], v[58:59]
	v_fma_f64 v[84:85], v[218:219], s[0:1], v[222:223]
	v_fma_f64 v[86:87], v[220:221], s[0:1], -v[224:225]
	v_add_f64 v[206:207], v[226:227], v[214:215]
	v_add_f64 v[208:209], v[228:229], v[216:217]
	v_fma_f64 v[222:223], v[218:219], s[28:29], -v[96:97]
	v_fma_f64 v[224:225], v[220:221], s[28:29], v[98:99]
	v_fma_f64 v[96:97], v[218:219], s[28:29], v[96:97]
	v_fma_f64 v[98:99], v[220:221], s[28:29], -v[98:99]
	v_mul_f64 v[214:215], v[210:211], s[46:47]
	v_mul_f64 v[216:217], v[212:213], s[46:47]
	v_add_f64 v[60:61], v[84:85], v[60:61]
	v_add_f64 v[62:63], v[86:87], v[62:63]
	;; [unrolled: 1-line block ×6, first 2 shown]
	v_mul_f64 v[96:97], v[210:211], s[36:37]
	v_mul_f64 v[98:99], v[212:213], s[36:37]
	v_fma_f64 v[84:85], v[218:219], s[12:13], -v[214:215]
	v_fma_f64 v[86:87], v[220:221], s[12:13], v[216:217]
	v_fma_f64 v[214:215], v[218:219], s[12:13], v[214:215]
	v_fma_f64 v[216:217], v[220:221], s[12:13], -v[216:217]
	s_waitcnt lgkmcnt(0)
	; wave barrier
	v_fma_f64 v[222:223], v[218:219], s[6:7], -v[96:97]
	v_fma_f64 v[224:225], v[220:221], s[6:7], v[98:99]
	v_fma_f64 v[96:97], v[218:219], s[6:7], v[96:97]
	v_fma_f64 v[98:99], v[220:221], s[6:7], -v[98:99]
	v_add_f64 v[76:77], v[84:85], v[76:77]
	v_add_f64 v[78:79], v[86:87], v[78:79]
	v_mul_f64 v[84:85], v[210:211], s[24:25]
	v_mul_f64 v[86:87], v[212:213], s[24:25]
	v_add_f64 v[64:65], v[214:215], v[64:65]
	v_add_f64 v[66:67], v[216:217], v[66:67]
	;; [unrolled: 1-line block ×4, first 2 shown]
	v_add_f64 v[96:97], v[118:119], -v[142:143]
	v_add_f64 v[98:99], v[116:117], -v[140:141]
	v_fma_f64 v[226:227], v[218:219], s[4:5], -v[84:85]
	v_fma_f64 v[228:229], v[220:221], s[4:5], v[86:87]
	v_add_f64 v[88:89], v[222:223], v[88:89]
	v_add_f64 v[90:91], v[224:225], v[90:91]
	v_fma_f64 v[84:85], v[218:219], s[4:5], v[84:85]
	v_fma_f64 v[86:87], v[220:221], s[4:5], -v[86:87]
	v_add_f64 v[214:215], v[116:117], v[140:141]
	v_add_f64 v[216:217], v[118:119], v[142:143]
	v_mul_f64 v[222:223], v[96:97], s[14:15]
	v_mul_f64 v[224:225], v[98:99], s[14:15]
	v_mul_f64 v[210:211], v[210:211], s[18:19]
	v_mul_f64 v[212:213], v[212:213], s[18:19]
	v_add_f64 v[68:69], v[84:85], v[68:69]
	v_add_f64 v[70:71], v[86:87], v[70:71]
	;; [unrolled: 1-line block ×4, first 2 shown]
	v_fma_f64 v[84:85], v[214:215], s[12:13], -v[222:223]
	v_fma_f64 v[86:87], v[216:217], s[12:13], v[224:225]
	v_fma_f64 v[226:227], v[218:219], s[16:17], -v[210:211]
	v_fma_f64 v[228:229], v[220:221], s[16:17], v[212:213]
	v_fma_f64 v[210:211], v[218:219], s[16:17], v[210:211]
	v_fma_f64 v[212:213], v[220:221], s[16:17], -v[212:213]
	v_mul_f64 v[218:219], v[96:97], s[36:37]
	v_mul_f64 v[220:221], v[98:99], s[36:37]
	v_add_f64 v[56:57], v[84:85], v[56:57]
	v_add_f64 v[58:59], v[86:87], v[58:59]
	v_fma_f64 v[84:85], v[214:215], s[12:13], v[222:223]
	v_fma_f64 v[86:87], v[216:217], s[12:13], -v[224:225]
	v_add_f64 v[0:1], v[210:211], v[0:1]
	v_add_f64 v[2:3], v[212:213], v[2:3]
	v_mul_f64 v[210:211], v[96:97], s[38:39]
	v_mul_f64 v[212:213], v[98:99], s[38:39]
	v_add_f64 v[206:207], v[226:227], v[206:207]
	v_add_f64 v[208:209], v[228:229], v[208:209]
	;; [unrolled: 1-line block ×4, first 2 shown]
	v_fma_f64 v[84:85], v[214:215], s[6:7], -v[218:219]
	v_fma_f64 v[86:87], v[216:217], s[6:7], v[220:221]
	v_fma_f64 v[222:223], v[214:215], s[16:17], -v[210:211]
	v_fma_f64 v[224:225], v[216:217], s[16:17], v[212:213]
	v_fma_f64 v[210:211], v[214:215], s[16:17], v[210:211]
	v_fma_f64 v[212:213], v[216:217], s[16:17], -v[212:213]
	v_add_f64 v[76:77], v[84:85], v[76:77]
	v_add_f64 v[78:79], v[86:87], v[78:79]
	v_fma_f64 v[84:85], v[214:215], s[6:7], v[218:219]
	v_fma_f64 v[86:87], v[216:217], s[6:7], -v[220:221]
	v_mul_f64 v[218:219], v[96:97], s[42:43]
	v_mul_f64 v[220:221], v[98:99], s[42:43]
	v_add_f64 v[52:53], v[210:211], v[52:53]
	v_add_f64 v[54:55], v[212:213], v[54:55]
	v_mul_f64 v[210:211], v[96:97], s[34:35]
	v_mul_f64 v[212:213], v[98:99], s[34:35]
	v_add_f64 v[64:65], v[84:85], v[64:65]
	v_add_f64 v[66:67], v[86:87], v[66:67]
	v_fma_f64 v[84:85], v[214:215], s[28:29], -v[218:219]
	v_fma_f64 v[86:87], v[216:217], s[28:29], v[220:221]
	v_add_f64 v[72:73], v[222:223], v[72:73]
	v_add_f64 v[74:75], v[224:225], v[74:75]
	v_fma_f64 v[222:223], v[214:215], s[0:1], -v[210:211]
	v_fma_f64 v[224:225], v[216:217], s[0:1], v[212:213]
	v_fma_f64 v[210:211], v[214:215], s[0:1], v[210:211]
	v_fma_f64 v[212:213], v[216:217], s[0:1], -v[212:213]
	v_mul_f64 v[96:97], v[96:97], s[40:41]
	v_mul_f64 v[98:99], v[98:99], s[40:41]
	v_add_f64 v[84:85], v[84:85], v[92:93]
	v_add_f64 v[86:87], v[86:87], v[94:95]
	v_add_f64 v[92:93], v[122:123], -v[134:135]
	v_add_f64 v[94:95], v[120:121], -v[132:133]
	v_add_f64 v[88:89], v[222:223], v[88:89]
	v_add_f64 v[90:91], v[224:225], v[90:91]
	;; [unrolled: 1-line block ×4, first 2 shown]
	v_fma_f64 v[210:211], v[214:215], s[28:29], v[218:219]
	v_fma_f64 v[212:213], v[216:217], s[28:29], -v[220:221]
	v_fma_f64 v[218:219], v[214:215], s[4:5], -v[96:97]
	v_fma_f64 v[220:221], v[216:217], s[4:5], v[98:99]
	v_add_f64 v[222:223], v[120:121], v[132:133]
	v_add_f64 v[224:225], v[122:123], v[134:135]
	v_mul_f64 v[226:227], v[92:93], s[18:19]
	v_mul_f64 v[228:229], v[94:95], s[18:19]
	v_fma_f64 v[96:97], v[214:215], s[4:5], v[96:97]
	v_fma_f64 v[98:99], v[216:217], s[4:5], -v[98:99]
	v_add_f64 v[68:69], v[210:211], v[68:69]
	v_add_f64 v[70:71], v[212:213], v[70:71]
	v_add_f64 v[206:207], v[218:219], v[206:207]
	v_add_f64 v[208:209], v[220:221], v[208:209]
	v_fma_f64 v[210:211], v[222:223], s[16:17], -v[226:227]
	v_fma_f64 v[212:213], v[224:225], s[16:17], v[228:229]
	v_add_f64 v[0:1], v[96:97], v[0:1]
	v_add_f64 v[2:3], v[98:99], v[2:3]
	v_mul_f64 v[96:97], v[92:93], s[30:31]
	v_mul_f64 v[98:99], v[94:95], s[30:31]
	v_fma_f64 v[214:215], v[222:223], s[16:17], v[226:227]
	v_fma_f64 v[216:217], v[224:225], s[16:17], -v[228:229]
	v_add_f64 v[56:57], v[210:211], v[56:57]
	v_add_f64 v[58:59], v[212:213], v[58:59]
	v_mul_f64 v[210:211], v[92:93], s[24:25]
	v_mul_f64 v[212:213], v[94:95], s[24:25]
	v_fma_f64 v[218:219], v[222:223], s[0:1], -v[96:97]
	v_fma_f64 v[220:221], v[224:225], s[0:1], v[98:99]
	v_add_f64 v[60:61], v[214:215], v[60:61]
	v_add_f64 v[62:63], v[216:217], v[62:63]
	v_fma_f64 v[96:97], v[222:223], s[0:1], v[96:97]
	v_fma_f64 v[98:99], v[224:225], s[0:1], -v[98:99]
	v_fma_f64 v[214:215], v[222:223], s[4:5], -v[210:211]
	v_fma_f64 v[216:217], v[224:225], s[4:5], v[212:213]
	v_add_f64 v[72:73], v[218:219], v[72:73]
	v_add_f64 v[74:75], v[220:221], v[74:75]
	v_mul_f64 v[218:219], v[92:93], s[42:43]
	v_mul_f64 v[220:221], v[94:95], s[42:43]
	v_add_f64 v[96:97], v[96:97], v[52:53]
	v_add_f64 v[98:99], v[98:99], v[54:55]
	;; [unrolled: 1-line block ×4, first 2 shown]
	v_fma_f64 v[52:53], v[222:223], s[4:5], v[210:211]
	v_fma_f64 v[54:55], v[224:225], s[4:5], -v[212:213]
	v_fma_f64 v[210:211], v[222:223], s[28:29], -v[218:219]
	v_fma_f64 v[212:213], v[224:225], s[28:29], v[220:221]
	v_mul_f64 v[214:215], v[92:93], s[36:37]
	v_mul_f64 v[216:217], v[94:95], s[36:37]
	v_fma_f64 v[218:219], v[222:223], s[28:29], v[218:219]
	v_fma_f64 v[220:221], v[224:225], s[28:29], -v[220:221]
	v_add_f64 v[226:227], v[52:53], v[64:65]
	v_add_f64 v[228:229], v[54:55], v[66:67]
	v_add_f64 v[88:89], v[210:211], v[88:89]
	v_add_f64 v[90:91], v[212:213], v[90:91]
	v_fma_f64 v[52:53], v[222:223], s[6:7], -v[214:215]
	v_fma_f64 v[54:55], v[224:225], s[6:7], v[216:217]
	v_fma_f64 v[64:65], v[222:223], s[6:7], v[214:215]
	v_fma_f64 v[66:67], v[224:225], s[6:7], -v[216:217]
	v_mul_f64 v[92:93], v[92:93], s[14:15]
	v_mul_f64 v[94:95], v[94:95], s[14:15]
	v_add_f64 v[210:211], v[126:127], -v[130:131]
	v_add_f64 v[212:213], v[124:125], -v[128:129]
	v_add_f64 v[80:81], v[218:219], v[80:81]
	v_add_f64 v[82:83], v[220:221], v[82:83]
	;; [unrolled: 1-line block ×6, first 2 shown]
	v_fma_f64 v[52:53], v[222:223], s[12:13], -v[92:93]
	v_fma_f64 v[54:55], v[224:225], s[12:13], v[94:95]
	v_add_f64 v[218:219], v[124:125], v[128:129]
	v_add_f64 v[220:221], v[126:127], v[130:131]
	v_mul_f64 v[64:65], v[210:211], s[26:27]
	v_mul_f64 v[66:67], v[212:213], s[26:27]
	v_fma_f64 v[68:69], v[222:223], s[12:13], v[92:93]
	v_fma_f64 v[70:71], v[224:225], s[12:13], -v[94:95]
	v_mul_f64 v[92:93], v[210:211], s[36:37]
	v_mul_f64 v[94:95], v[212:213], s[36:37]
	v_add_f64 v[206:207], v[52:53], v[206:207]
	v_add_f64 v[208:209], v[54:55], v[208:209]
	v_fma_f64 v[52:53], v[218:219], s[28:29], -v[64:65]
	v_fma_f64 v[54:55], v[220:221], s[28:29], v[66:67]
	v_add_f64 v[0:1], v[68:69], v[0:1]
	v_add_f64 v[2:3], v[70:71], v[2:3]
	v_fma_f64 v[64:65], v[218:219], s[28:29], v[64:65]
	v_fma_f64 v[66:67], v[220:221], s[28:29], -v[66:67]
	v_fma_f64 v[68:69], v[218:219], s[6:7], -v[92:93]
	v_fma_f64 v[70:71], v[220:221], s[6:7], v[94:95]
	v_mul_f64 v[222:223], v[210:211], s[18:19]
	v_mul_f64 v[224:225], v[212:213], s[18:19]
	v_add_f64 v[52:53], v[52:53], v[56:57]
	v_add_f64 v[54:55], v[54:55], v[58:59]
	v_add_f64 v[24:25], v[64:65], v[60:61]
	v_add_f64 v[26:27], v[66:67], v[62:63]
	v_add_f64 v[72:73], v[68:69], v[72:73]
	v_add_f64 v[74:75], v[70:71], v[74:75]
	v_fma_f64 v[60:61], v[218:219], s[6:7], v[92:93]
	v_fma_f64 v[62:63], v[220:221], s[6:7], -v[94:95]
	v_fma_f64 v[68:69], v[218:219], s[16:17], -v[222:223]
	v_fma_f64 v[70:71], v[220:221], s[16:17], v[224:225]
	v_mul_f64 v[92:93], v[210:211], s[40:41]
	v_mul_f64 v[94:95], v[212:213], s[40:41]
	v_fma_f64 v[222:223], v[218:219], s[16:17], v[222:223]
	v_fma_f64 v[224:225], v[220:221], s[16:17], -v[224:225]
	v_add_f64 v[29:30], v[60:61], v[96:97]
	v_add_f64 v[31:32], v[62:63], v[98:99]
	;; [unrolled: 1-line block ×4, first 2 shown]
	v_fma_f64 v[68:69], v[218:219], s[4:5], -v[92:93]
	v_fma_f64 v[70:71], v[220:221], s[4:5], v[94:95]
	v_fma_f64 v[92:93], v[218:219], s[4:5], v[92:93]
	v_fma_f64 v[94:95], v[220:221], s[4:5], -v[94:95]
	v_mul_f64 v[96:97], v[210:211], s[14:15]
	v_mul_f64 v[98:99], v[212:213], s[14:15]
	v_add_f64 v[33:34], v[222:223], v[226:227]
	v_add_f64 v[35:36], v[224:225], v[228:229]
	;; [unrolled: 1-line block ×4, first 2 shown]
	v_mul_f64 v[88:89], v[210:211], s[30:31]
	v_mul_f64 v[90:91], v[212:213], s[30:31]
	v_add_f64 v[64:65], v[92:93], v[80:81]
	v_add_f64 v[66:67], v[94:95], v[82:83]
	v_fma_f64 v[92:93], v[218:219], s[12:13], -v[96:97]
	v_fma_f64 v[94:95], v[220:221], s[12:13], v[98:99]
	v_fma_f64 v[96:97], v[218:219], s[12:13], v[96:97]
	v_fma_f64 v[98:99], v[220:221], s[12:13], -v[98:99]
	v_fma_f64 v[210:211], v[218:219], s[0:1], -v[88:89]
	v_fma_f64 v[212:213], v[220:221], s[0:1], v[90:91]
	v_fma_f64 v[218:219], v[218:219], s[0:1], v[88:89]
	v_fma_f64 v[220:221], v[220:221], s[0:1], -v[90:91]
	v_add_f64 v[56:57], v[92:93], v[84:85]
	v_add_f64 v[58:59], v[94:95], v[86:87]
	;; [unrolled: 1-line block ×8, first 2 shown]
	v_mul_lo_u16_e32 v0, 13, v11
	v_lshl_add_u32 v4, v0, 4, v255
	ds_write_b128 v4, v[152:155]
	ds_write_b128 v4, v[164:167] offset:16
	ds_write_b128 v4, v[168:171] offset:32
	;; [unrolled: 1-line block ×12, first 2 shown]
	s_and_saveexec_b64 s[0:1], vcc
	s_cbranch_execz .LBB0_7
; %bb.6:
	v_add_f64 v[0:1], v[102:103], v[106:107]
	v_add_f64 v[2:3], v[100:101], v[104:105]
	ds_write_b128 v255, v[52:55] offset:2720
	ds_write_b128 v255, v[72:75] offset:2736
	;; [unrolled: 1-line block ×4, first 2 shown]
	v_add_f64 v[0:1], v[0:1], v[110:111]
	v_add_f64 v[2:3], v[2:3], v[108:109]
	;; [unrolled: 1-line block ×22, first 2 shown]
	ds_write_b128 v255, v[56:59] offset:2784
	ds_write_b128 v255, v[68:71] offset:2800
	;; [unrolled: 1-line block ×9, first 2 shown]
.LBB0_7:
	s_or_b64 exec, exec, s[0:1]
	v_lshlrev_b32_e32 v7, 4, v11
	s_waitcnt lgkmcnt(0)
	; wave barrier
	s_waitcnt lgkmcnt(0)
	ds_read_b128 v[124:127], v232
	ds_read_b128 v[0:3], v232 offset:1456
	ds_read_b128 v[128:131], v232 offset:208
	;; [unrolled: 1-line block ×13, first 2 shown]
	global_load_dwordx4 v[100:103], v7, s[2:3]
	s_movk_i32 s4, 0x4f
	v_mov_b32_e32 v8, 4
	s_mov_b32 s12, 0xe976ee23
	s_mov_b32 s6, 0x429ad128
	;; [unrolled: 1-line block ×16, first 2 shown]
	s_add_u32 s0, s20, 0xb60
	s_addc_u32 s1, s21, 0
	s_waitcnt vmcnt(0) lgkmcnt(12)
	v_mul_f64 v[156:157], v[2:3], v[102:103]
	v_fma_f64 v[156:157], v[0:1], v[100:101], -v[156:157]
	v_mul_f64 v[0:1], v[0:1], v[102:103]
	v_fma_f64 v[158:159], v[2:3], v[100:101], v[0:1]
	s_waitcnt lgkmcnt(10)
	v_mul_f64 v[0:1], v[106:107], v[102:103]
	v_fma_f64 v[160:161], v[104:105], v[100:101], -v[0:1]
	v_mul_f64 v[0:1], v[104:105], v[102:103]
	v_fma_f64 v[162:163], v[106:107], v[100:101], v[0:1]
	v_add_u16_e32 v0, 26, v11
	v_mul_lo_u16_sdwa v1, v0, s4 dst_sel:DWORD dst_unused:UNUSED_PAD src0_sel:BYTE_0 src1_sel:DWORD
	v_lshrrev_b16_e32 v1, 10, v1
	v_mul_lo_u16_e32 v1, 13, v1
	v_sub_u16_e32 v0, v0, v1
	v_lshlrev_b32_sdwa v9, v8, v0 dst_sel:DWORD dst_unused:UNUSED_PAD src0_sel:DWORD src1_sel:BYTE_0
	global_load_dwordx4 v[104:107], v9, s[2:3]
	v_add_u32_e32 v28, v255, v9
	s_waitcnt vmcnt(0) lgkmcnt(8)
	v_mul_f64 v[0:1], v[110:111], v[106:107]
	v_fma_f64 v[164:165], v[108:109], v[104:105], -v[0:1]
	v_mul_f64 v[0:1], v[108:109], v[106:107]
	v_fma_f64 v[166:167], v[110:111], v[104:105], v[0:1]
	v_add_u16_e32 v0, 39, v11
	v_mul_lo_u16_sdwa v1, v0, s4 dst_sel:DWORD dst_unused:UNUSED_PAD src0_sel:BYTE_0 src1_sel:DWORD
	v_lshrrev_b16_e32 v1, 10, v1
	v_mul_lo_u16_e32 v1, 13, v1
	v_sub_u16_e32 v0, v0, v1
	v_lshlrev_b32_sdwa v0, v8, v0 dst_sel:DWORD dst_unused:UNUSED_PAD src0_sel:DWORD src1_sel:BYTE_0
	global_load_dwordx4 v[108:111], v0, s[2:3]
	v_add_u32_e32 v37, v255, v0
	s_waitcnt vmcnt(0) lgkmcnt(6)
	;; [unrolled: 13-line block ×3, first 2 shown]
	v_mul_f64 v[2:3], v[118:119], v[114:115]
	v_fma_f64 v[172:173], v[116:117], v[112:113], -v[2:3]
	v_mul_f64 v[2:3], v[116:117], v[114:115]
	v_fma_f64 v[174:175], v[118:119], v[112:113], v[2:3]
	v_add_u16_e32 v2, 0x41, v11
	v_mul_lo_u16_sdwa v3, v2, s4 dst_sel:DWORD dst_unused:UNUSED_PAD src0_sel:BYTE_0 src1_sel:DWORD
	v_lshrrev_b16_e32 v3, 10, v3
	v_mul_lo_u16_e32 v3, 13, v3
	v_sub_u16_e32 v2, v2, v3
	v_lshlrev_b32_sdwa v2, v8, v2 dst_sel:DWORD dst_unused:UNUSED_PAD src0_sel:DWORD src1_sel:BYTE_0
	global_load_dwordx4 v[116:119], v2, s[2:3]
	v_add_u16_e32 v3, 0x4e, v11
	v_mul_lo_u16_sdwa v10, v3, s4 dst_sel:DWORD dst_unused:UNUSED_PAD src0_sel:BYTE_0 src1_sel:DWORD
	v_lshrrev_b16_e32 v10, 10, v10
	v_mul_lo_u16_e32 v10, 13, v10
	v_sub_u16_e32 v3, v3, v10
	v_lshlrev_b32_sdwa v3, v8, v3 dst_sel:DWORD dst_unused:UNUSED_PAD src0_sel:DWORD src1_sel:BYTE_0
	s_movk_i32 s4, 0x60
	v_add_u32_e32 v39, v255, v2
	s_waitcnt vmcnt(0) lgkmcnt(2)
	v_mul_f64 v[176:177], v[122:123], v[118:119]
	v_fma_f64 v[176:177], v[120:121], v[116:117], -v[176:177]
	v_mul_f64 v[120:121], v[120:121], v[118:119]
	v_fma_f64 v[178:179], v[122:123], v[116:117], v[120:121]
	global_load_dwordx4 v[120:123], v3, s[2:3]
	s_waitcnt lgkmcnt(0)
	; wave barrier
	s_waitcnt vmcnt(0) lgkmcnt(0)
	v_mul_f64 v[180:181], v[154:155], v[122:123]
	v_fma_f64 v[180:181], v[152:153], v[120:121], -v[180:181]
	v_mul_f64 v[152:153], v[152:153], v[122:123]
	v_fma_f64 v[182:183], v[154:155], v[120:121], v[152:153]
	v_add_f64 v[152:153], v[124:125], -v[156:157]
	v_add_f64 v[154:155], v[126:127], -v[158:159]
	v_add_f64 v[156:157], v[128:129], -v[160:161]
	v_add_f64 v[158:159], v[130:131], -v[162:163]
	v_add_f64 v[160:161], v[132:133], -v[164:165]
	v_add_f64 v[162:163], v[134:135], -v[166:167]
	v_add_f64 v[164:165], v[136:137], -v[168:169]
	v_add_f64 v[166:167], v[138:139], -v[170:171]
	v_add_f64 v[168:169], v[140:141], -v[172:173]
	v_add_f64 v[170:171], v[142:143], -v[174:175]
	v_add_f64 v[172:173], v[144:145], -v[176:177]
	v_add_f64 v[174:175], v[146:147], -v[178:179]
	v_add_f64 v[176:177], v[148:149], -v[180:181]
	v_add_f64 v[178:179], v[150:151], -v[182:183]
	v_fma_f64 v[124:125], v[124:125], 2.0, -v[152:153]
	v_fma_f64 v[126:127], v[126:127], 2.0, -v[154:155]
	;; [unrolled: 1-line block ×14, first 2 shown]
	ds_write_b128 v232, v[124:127]
	ds_write_b128 v232, v[152:155] offset:208
	ds_write_b128 v232, v[128:131] offset:416
	;; [unrolled: 1-line block ×3, first 2 shown]
	v_mov_b32_e32 v125, s3
	v_mov_b32_e32 v124, s2
	v_mad_u64_u32 v[206:207], s[2:3], v11, s4, v[124:125]
	ds_write_b128 v28, v[132:135] offset:832
	ds_write_b128 v28, v[160:163] offset:1040
	v_add_u32_e32 v132, v255, v3
	ds_write_b128 v37, v[136:139] offset:1248
	ds_write_b128 v37, v[164:167] offset:1456
	ds_write_b128 v38, v[140:143] offset:1664
	ds_write_b128 v38, v[168:171] offset:1872
	ds_write_b128 v39, v[144:147] offset:2080
	ds_write_b128 v39, v[172:175] offset:2288
	ds_write_b128 v132, v[148:151] offset:2496
	ds_write_b128 v132, v[176:179] offset:2704
	s_waitcnt lgkmcnt(0)
	; wave barrier
	s_waitcnt lgkmcnt(0)
	ds_read_b128 v[176:179], v232
	ds_read_b128 v[0:3], v232 offset:416
	ds_read_b128 v[136:139], v232 offset:832
	;; [unrolled: 1-line block ×13, first 2 shown]
	global_load_dwordx4 v[124:127], v[206:207], off offset:256
	global_load_dwordx4 v[128:131], v[206:207], off offset:240
	;; [unrolled: 1-line block ×4, first 2 shown]
	s_mov_b32 s4, 0x37e14327
	s_mov_b32 s2, 0x36b3c0b5
	;; [unrolled: 1-line block ×4, first 2 shown]
	s_waitcnt vmcnt(0) lgkmcnt(12)
	v_mul_f64 v[160:161], v[2:3], v[142:143]
	v_fma_f64 v[208:209], v[0:1], v[140:141], -v[160:161]
	v_mul_f64 v[0:1], v[0:1], v[142:143]
	v_fma_f64 v[210:211], v[2:3], v[140:141], v[0:1]
	s_waitcnt lgkmcnt(11)
	v_mul_f64 v[0:1], v[138:139], v[14:15]
	v_fma_f64 v[212:213], v[136:137], v[12:13], -v[0:1]
	v_mul_f64 v[0:1], v[136:137], v[14:15]
	buffer_store_dword v12, off, s[48:51], 0 offset:176 ; 4-byte Folded Spill
	s_nop 0
	buffer_store_dword v13, off, s[48:51], 0 offset:180 ; 4-byte Folded Spill
	buffer_store_dword v14, off, s[48:51], 0 offset:184 ; 4-byte Folded Spill
	;; [unrolled: 1-line block ×3, first 2 shown]
	global_load_dwordx4 v[133:136], v[206:207], off offset:288
	global_load_dwordx4 v[160:163], v[206:207], off offset:272
	v_fma_f64 v[214:215], v[138:139], v[12:13], v[0:1]
	s_waitcnt lgkmcnt(10)
	v_mul_f64 v[0:1], v[146:147], v[130:131]
	v_fma_f64 v[216:217], v[144:145], v[128:129], -v[0:1]
	v_mul_f64 v[0:1], v[144:145], v[130:131]
	v_fma_f64 v[218:219], v[146:147], v[128:129], v[0:1]
	s_waitcnt lgkmcnt(9)
	v_mul_f64 v[0:1], v[150:151], v[126:127]
	v_fma_f64 v[220:221], v[148:149], v[124:125], -v[0:1]
	v_mul_f64 v[0:1], v[148:149], v[126:127]
	v_fma_f64 v[222:223], v[150:151], v[124:125], v[0:1]
	s_waitcnt vmcnt(0) lgkmcnt(8)
	v_mul_f64 v[0:1], v[154:155], v[162:163]
	v_fma_f64 v[224:225], v[152:153], v[160:161], -v[0:1]
	v_mul_f64 v[0:1], v[152:153], v[162:163]
	v_fma_f64 v[226:227], v[154:155], v[160:161], v[0:1]
	s_waitcnt lgkmcnt(7)
	v_mul_f64 v[0:1], v[158:159], v[135:136]
	v_fma_f64 v[228:229], v[156:157], v[133:134], -v[0:1]
	v_mul_f64 v[0:1], v[156:157], v[135:136]
	v_fma_f64 v[230:231], v[158:159], v[133:134], v[0:1]
	global_load_dwordx4 v[148:151], v[206:207], off offset:1504
	global_load_dwordx4 v[152:155], v[206:207], off offset:1488
	;; [unrolled: 1-line block ×4, first 2 shown]
	s_waitcnt vmcnt(1) lgkmcnt(4)
	v_mul_f64 v[144:145], v[192:193], v[158:159]
	s_waitcnt vmcnt(0)
	v_mul_f64 v[2:3], v[168:169], v[166:167]
	v_mul_f64 v[0:1], v[170:171], v[166:167]
	v_fma_f64 v[190:191], v[170:171], v[164:165], v[2:3]
	v_mul_f64 v[2:3], v[194:195], v[158:159]
	v_fma_f64 v[0:1], v[168:169], v[164:165], -v[0:1]
	v_fma_f64 v[2:3], v[192:193], v[156:157], -v[2:3]
	v_fma_f64 v[192:193], v[194:195], v[156:157], v[144:145]
	s_waitcnt lgkmcnt(3)
	v_mul_f64 v[144:145], v[198:199], v[154:155]
	v_fma_f64 v[188:189], v[196:197], v[152:153], -v[144:145]
	v_mul_f64 v[144:145], v[196:197], v[154:155]
	v_fma_f64 v[194:195], v[198:199], v[152:153], v[144:145]
	s_waitcnt lgkmcnt(2)
	v_mul_f64 v[144:145], v[202:203], v[150:151]
	v_fma_f64 v[196:197], v[200:201], v[148:149], -v[144:145]
	v_mul_f64 v[144:145], v[200:201], v[150:151]
	v_fma_f64 v[198:199], v[202:203], v[148:149], v[144:145]
	global_load_dwordx4 v[144:147], v[206:207], off offset:1536
	global_load_dwordx4 v[168:171], v[206:207], off offset:1520
	v_add_f64 v[202:203], v[214:215], v[226:227]
	v_add_f64 v[206:207], v[212:213], -v[224:225]
	s_waitcnt vmcnt(0) lgkmcnt(1)
	v_mul_f64 v[200:201], v[186:187], v[170:171]
	v_fma_f64 v[233:234], v[184:185], v[168:169], -v[200:201]
	v_mul_f64 v[184:185], v[184:185], v[170:171]
	v_add_f64 v[200:201], v[212:213], v[224:225]
	v_add_f64 v[212:213], v[218:219], v[222:223]
	v_fma_f64 v[235:236], v[186:187], v[168:169], v[184:185]
	s_waitcnt lgkmcnt(0)
	v_mul_f64 v[184:185], v[182:183], v[146:147]
	v_add_f64 v[186:187], v[210:211], -v[230:231]
	v_fma_f64 v[237:238], v[180:181], v[144:145], -v[184:185]
	v_mul_f64 v[180:181], v[180:181], v[146:147]
	v_add_f64 v[184:185], v[208:209], -v[228:229]
	v_fma_f64 v[239:240], v[182:183], v[144:145], v[180:181]
	v_add_f64 v[180:181], v[208:209], v[228:229]
	v_add_f64 v[182:183], v[210:211], v[230:231]
	v_add_f64 v[208:209], v[214:215], -v[226:227]
	v_add_f64 v[210:211], v[216:217], v[220:221]
	v_add_f64 v[214:215], v[220:221], -v[216:217]
	v_add_f64 v[216:217], v[222:223], -v[218:219]
	v_add_f64 v[218:219], v[200:201], v[180:181]
	v_add_f64 v[220:221], v[202:203], v[182:183]
	v_add_f64 v[222:223], v[200:201], -v[180:181]
	v_add_f64 v[224:225], v[202:203], -v[182:183]
	;; [unrolled: 1-line block ×6, first 2 shown]
	v_add_f64 v[226:227], v[214:215], v[206:207]
	v_add_f64 v[228:229], v[216:217], v[208:209]
	v_add_f64 v[230:231], v[214:215], -v[206:207]
	v_add_f64 v[241:242], v[216:217], -v[208:209]
	;; [unrolled: 1-line block ×4, first 2 shown]
	v_add_f64 v[210:211], v[210:211], v[218:219]
	v_add_f64 v[212:213], v[212:213], v[220:221]
	v_add_f64 v[214:215], v[184:185], -v[214:215]
	v_add_f64 v[216:217], v[186:187], -v[216:217]
	v_add_f64 v[184:185], v[226:227], v[184:185]
	v_add_f64 v[186:187], v[228:229], v[186:187]
	v_mul_f64 v[180:181], v[180:181], s[4:5]
	v_mul_f64 v[182:183], v[182:183], s[4:5]
	v_add_f64 v[176:177], v[176:177], v[210:211]
	v_add_f64 v[178:179], v[178:179], v[212:213]
	v_mul_f64 v[218:219], v[200:201], s[2:3]
	v_mul_f64 v[220:221], v[202:203], s[2:3]
	;; [unrolled: 1-line block ×6, first 2 shown]
	v_fma_f64 v[210:211], v[210:211], s[14:15], v[176:177]
	v_fma_f64 v[212:213], v[212:213], s[14:15], v[178:179]
	;; [unrolled: 1-line block ×4, first 2 shown]
	v_fma_f64 v[218:219], v[222:223], s[18:19], -v[218:219]
	v_fma_f64 v[220:221], v[224:225], s[18:19], -v[220:221]
	;; [unrolled: 1-line block ×4, first 2 shown]
	v_fma_f64 v[222:223], v[214:215], s[26:27], v[226:227]
	v_fma_f64 v[224:225], v[216:217], s[26:27], v[228:229]
	v_fma_f64 v[206:207], v[206:207], s[6:7], -v[226:227]
	v_fma_f64 v[208:209], v[208:209], s[6:7], -v[228:229]
	;; [unrolled: 1-line block ×4, first 2 shown]
	v_add_f64 v[226:227], v[200:201], v[210:211]
	v_add_f64 v[228:229], v[202:203], v[212:213]
	v_add_f64 v[218:219], v[218:219], v[210:211]
	v_add_f64 v[220:221], v[220:221], v[212:213]
	v_add_f64 v[210:211], v[180:181], v[210:211]
	v_add_f64 v[212:213], v[182:183], v[212:213]
	v_fma_f64 v[222:223], v[184:185], s[16:17], v[222:223]
	v_fma_f64 v[224:225], v[186:187], s[16:17], v[224:225]
	;; [unrolled: 1-line block ×6, first 2 shown]
	v_add_f64 v[182:183], v[228:229], -v[222:223]
	v_add_f64 v[180:181], v[224:225], v[226:227]
	v_add_f64 v[202:203], v[230:231], v[220:221]
	v_add_f64 v[200:201], v[218:219], -v[206:207]
	v_add_f64 v[186:187], v[212:213], -v[214:215]
	v_add_f64 v[184:185], v[216:217], v[210:211]
	v_add_f64 v[206:207], v[206:207], v[218:219]
	v_add_f64 v[208:209], v[220:221], -v[230:231]
	v_add_f64 v[210:211], v[210:211], -v[216:217]
	v_add_f64 v[212:213], v[214:215], v[212:213]
	v_add_f64 v[214:215], v[226:227], -v[224:225]
	v_add_f64 v[216:217], v[222:223], v[228:229]
	v_add_f64 v[218:219], v[0:1], v[237:238]
	;; [unrolled: 1-line block ×5, first 2 shown]
	v_add_f64 v[2:3], v[2:3], -v[233:234]
	v_add_f64 v[192:193], v[192:193], -v[235:236]
	v_add_f64 v[226:227], v[188:189], v[196:197]
	v_add_f64 v[228:229], v[194:195], v[198:199]
	v_add_f64 v[188:189], v[196:197], -v[188:189]
	v_add_f64 v[194:195], v[198:199], -v[194:195]
	v_add_f64 v[196:197], v[222:223], v[218:219]
	v_add_f64 v[198:199], v[224:225], v[220:221]
	v_add_f64 v[0:1], v[0:1], -v[237:238]
	v_add_f64 v[190:191], v[190:191], -v[239:240]
	v_add_f64 v[230:231], v[222:223], -v[218:219]
	v_add_f64 v[233:234], v[224:225], -v[220:221]
	v_add_f64 v[218:219], v[218:219], -v[226:227]
	v_add_f64 v[220:221], v[220:221], -v[228:229]
	v_add_f64 v[222:223], v[226:227], -v[222:223]
	v_add_f64 v[224:225], v[228:229], -v[224:225]
	v_add_f64 v[235:236], v[188:189], v[2:3]
	v_add_f64 v[237:238], v[194:195], v[192:193]
	v_add_f64 v[239:240], v[188:189], -v[2:3]
	v_add_f64 v[241:242], v[194:195], -v[192:193]
	v_add_f64 v[196:197], v[226:227], v[196:197]
	v_add_f64 v[198:199], v[228:229], v[198:199]
	v_add_f64 v[2:3], v[2:3], -v[0:1]
	v_add_f64 v[192:193], v[192:193], -v[190:191]
	;; [unrolled: 1-line block ×4, first 2 shown]
	v_add_f64 v[0:1], v[235:236], v[0:1]
	v_add_f64 v[226:227], v[237:238], v[190:191]
	;; [unrolled: 1-line block ×4, first 2 shown]
	v_mul_f64 v[172:173], v[218:219], s[4:5]
	v_mul_f64 v[174:175], v[220:221], s[4:5]
	;; [unrolled: 1-line block ×8, first 2 shown]
	v_fma_f64 v[196:197], v[196:197], s[14:15], v[188:189]
	v_fma_f64 v[198:199], v[198:199], s[14:15], v[190:191]
	;; [unrolled: 1-line block ×4, first 2 shown]
	v_fma_f64 v[218:219], v[230:231], s[18:19], -v[218:219]
	v_fma_f64 v[220:221], v[233:234], s[18:19], -v[220:221]
	;; [unrolled: 1-line block ×4, first 2 shown]
	v_fma_f64 v[230:231], v[243:244], s[26:27], v[228:229]
	v_fma_f64 v[233:234], v[194:195], s[26:27], v[235:236]
	v_fma_f64 v[2:3], v[2:3], s[6:7], -v[228:229]
	v_fma_f64 v[192:193], v[192:193], s[6:7], -v[235:236]
	;; [unrolled: 1-line block ×4, first 2 shown]
	v_add_f64 v[235:236], v[222:223], v[196:197]
	v_add_f64 v[237:238], v[224:225], v[198:199]
	v_fma_f64 v[230:231], v[0:1], s[16:17], v[230:231]
	v_fma_f64 v[233:234], v[226:227], s[16:17], v[233:234]
	v_add_f64 v[172:173], v[172:173], v[196:197]
	v_add_f64 v[174:175], v[174:175], v[198:199]
	v_fma_f64 v[2:3], v[0:1], s[16:17], v[2:3]
	v_fma_f64 v[239:240], v[226:227], s[16:17], v[192:193]
	;; [unrolled: 1-line block ×4, first 2 shown]
	v_add_f64 v[222:223], v[218:219], v[196:197]
	v_add_f64 v[224:225], v[220:221], v[198:199]
	;; [unrolled: 1-line block ×3, first 2 shown]
	v_add_f64 v[194:195], v[237:238], -v[230:231]
	ds_write_b128 v232, v[176:179]
	ds_write_b128 v232, v[180:183] offset:416
	ds_write_b128 v232, v[184:187] offset:832
	;; [unrolled: 1-line block ×6, first 2 shown]
	v_add_f64 v[198:199], v[174:175], -v[0:1]
	v_add_f64 v[196:197], v[226:227], v[172:173]
	v_add_f64 v[218:219], v[222:223], -v[239:240]
	v_add_f64 v[220:221], v[2:3], v[224:225]
	v_add_f64 v[222:223], v[239:240], v[222:223]
	v_add_f64 v[224:225], v[224:225], -v[2:3]
	v_add_f64 v[226:227], v[172:173], -v[226:227]
	v_add_f64 v[228:229], v[0:1], v[174:175]
	v_add_f64 v[172:173], v[235:236], -v[233:234]
	v_add_f64 v[174:175], v[230:231], v[237:238]
	v_lshl_add_u32 v0, v6, 4, v5
	ds_write_b128 v232, v[188:191] offset:208
	ds_write_b128 v0, v[192:195] offset:624
	;; [unrolled: 1-line block ×7, first 2 shown]
	s_waitcnt lgkmcnt(0)
	; wave barrier
	s_waitcnt lgkmcnt(0)
	global_load_dwordx4 v[180:183], v[204:205], off offset:2912
	ds_read_b128 v[176:179], v232
	s_waitcnt vmcnt(0) lgkmcnt(0)
	v_mul_f64 v[1:2], v[178:179], v[182:183]
	v_fma_f64 v[184:185], v[176:177], v[180:181], -v[1:2]
	v_mul_f64 v[1:2], v[176:177], v[182:183]
	v_fma_f64 v[186:187], v[178:179], v[180:181], v[1:2]
	global_load_dwordx4 v[180:183], v7, s[0:1] offset:224
	ds_read_b128 v[176:179], v232 offset:224
	ds_write_b128 v232, v[184:187]
	s_waitcnt vmcnt(0) lgkmcnt(1)
	v_mul_f64 v[1:2], v[178:179], v[182:183]
	v_fma_f64 v[184:185], v[176:177], v[180:181], -v[1:2]
	v_mul_f64 v[1:2], v[176:177], v[182:183]
	v_fma_f64 v[186:187], v[178:179], v[180:181], v[1:2]
	global_load_dwordx4 v[180:183], v7, s[0:1] offset:448
	ds_read_b128 v[176:179], v232 offset:448
	ds_write_b128 v232, v[184:187] offset:224
	s_waitcnt vmcnt(0) lgkmcnt(1)
	v_mul_f64 v[1:2], v[178:179], v[182:183]
	v_fma_f64 v[184:185], v[176:177], v[180:181], -v[1:2]
	v_mul_f64 v[1:2], v[176:177], v[182:183]
	v_fma_f64 v[186:187], v[178:179], v[180:181], v[1:2]
	global_load_dwordx4 v[180:183], v7, s[0:1] offset:672
	ds_read_b128 v[176:179], v232 offset:672
	ds_write_b128 v232, v[184:187] offset:448
	;; [unrolled: 8-line block ×11, first 2 shown]
	s_waitcnt vmcnt(0) lgkmcnt(1)
	v_mul_f64 v[1:2], v[178:179], v[182:183]
	v_fma_f64 v[184:185], v[176:177], v[180:181], -v[1:2]
	v_mul_f64 v[1:2], v[176:177], v[182:183]
	v_fma_f64 v[186:187], v[178:179], v[180:181], v[1:2]
	ds_write_b128 v232, v[184:187] offset:2688
	s_and_saveexec_b64 s[24:25], vcc
	s_cbranch_execz .LBB0_9
; %bb.8:
	s_load_dwordx4 s[0:3], s[20:21], 0xc30
	ds_read_b128 v[176:179], v255 offset:208
	ds_read_b128 v[180:183], v255 offset:432
	s_load_dwordx4 s[4:7], s[20:21], 0xd10
	ds_read_b128 v[184:187], v255 offset:656
	ds_read_b128 v[188:191], v255 offset:880
	s_load_dwordx4 s[12:15], s[20:21], 0xdf0
	s_load_dwordx4 s[16:19], s[20:21], 0xed0
	s_waitcnt lgkmcnt(0)
	v_mul_f64 v[1:2], v[178:179], s[2:3]
	v_mul_f64 v[5:6], v[176:177], s[2:3]
	s_load_dwordx4 s[28:31], s[20:21], 0xfb0
	ds_read_b128 v[192:195], v255 offset:1104
	ds_read_b128 v[196:199], v255 offset:1328
	v_mul_f64 v[200:201], v[182:183], s[6:7]
	v_mul_f64 v[202:203], v[180:181], s[6:7]
	;; [unrolled: 1-line block ×3, first 2 shown]
	v_fma_f64 v[176:177], v[176:177], s[0:1], -v[1:2]
	v_fma_f64 v[178:179], v[178:179], s[0:1], v[5:6]
	v_mul_f64 v[1:2], v[186:187], s[14:15]
	v_mul_f64 v[5:6], v[184:185], s[14:15]
	;; [unrolled: 1-line block ×3, first 2 shown]
	s_load_dwordx4 s[0:3], s[20:21], 0x1090
	s_waitcnt lgkmcnt(0)
	v_mul_f64 v[208:209], v[194:195], s[30:31]
	v_mul_f64 v[210:211], v[192:193], s[30:31]
	v_fma_f64 v[180:181], v[180:181], s[4:5], -v[200:201]
	v_fma_f64 v[182:183], v[182:183], s[4:5], v[202:203]
	v_fma_f64 v[184:185], v[184:185], s[12:13], -v[1:2]
	v_fma_f64 v[186:187], v[186:187], s[12:13], v[5:6]
	;; [unrolled: 2-line block ×4, first 2 shown]
	ds_write_b128 v255, v[176:179] offset:208
	ds_write_b128 v255, v[180:183] offset:432
	;; [unrolled: 1-line block ×5, first 2 shown]
	s_load_dwordx4 s[12:15], s[20:21], 0x1170
	s_load_dwordx4 s[16:19], s[20:21], 0x1250
	ds_read_b128 v[176:179], v255 offset:1552
	ds_read_b128 v[180:183], v255 offset:1776
	v_mul_f64 v[1:2], v[198:199], s[2:3]
	v_mul_f64 v[5:6], v[196:197], s[2:3]
	s_load_dwordx4 s[28:31], s[20:21], 0x1330
	s_load_dwordx4 s[4:7], s[20:21], 0x1410
	ds_read_b128 v[184:187], v255 offset:2000
	ds_read_b128 v[188:191], v255 offset:2224
	s_waitcnt lgkmcnt(0)
	v_mul_f64 v[200:201], v[178:179], s[14:15]
	v_mul_f64 v[202:203], v[176:177], s[14:15]
	;; [unrolled: 1-line block ×6, first 2 shown]
	v_fma_f64 v[192:193], v[196:197], s[0:1], -v[1:2]
	v_fma_f64 v[194:195], v[198:199], s[0:1], v[5:6]
	s_load_dwordx4 s[0:3], s[20:21], 0x14f0
	v_fma_f64 v[176:177], v[176:177], s[12:13], -v[200:201]
	v_fma_f64 v[178:179], v[178:179], s[12:13], v[202:203]
	ds_read_b128 v[196:199], v255 offset:2448
	ds_read_b128 v[200:203], v255 offset:2672
	s_load_dwordx4 s[12:15], s[20:21], 0x15d0
	v_fma_f64 v[180:181], v[180:181], s[16:17], -v[204:205]
	v_fma_f64 v[182:183], v[182:183], s[16:17], v[206:207]
	s_load_dwordx4 s[16:19], s[20:21], 0x16b0
	ds_read_b128 v[204:207], v255 offset:2896
	v_mul_f64 v[1:2], v[190:191], s[6:7]
	v_mul_f64 v[5:6], v[188:189], s[6:7]
	v_fma_f64 v[184:185], v[184:185], s[28:29], -v[208:209]
	v_fma_f64 v[186:187], v[186:187], s[28:29], v[210:211]
	s_waitcnt lgkmcnt(0)
	v_mul_f64 v[208:209], v[198:199], s[2:3]
	v_mul_f64 v[210:211], v[196:197], s[2:3]
	;; [unrolled: 1-line block ×6, first 2 shown]
	v_fma_f64 v[188:189], v[188:189], s[4:5], -v[1:2]
	v_fma_f64 v[190:191], v[190:191], s[4:5], v[5:6]
	v_fma_f64 v[196:197], v[196:197], s[0:1], -v[208:209]
	v_fma_f64 v[198:199], v[198:199], s[0:1], v[210:211]
	;; [unrolled: 2-line block ×4, first 2 shown]
	ds_write_b128 v255, v[192:195] offset:1328
	ds_write_b128 v255, v[176:179] offset:1552
	;; [unrolled: 1-line block ×8, first 2 shown]
.LBB0_9:
	s_or_b64 exec, exec, s[24:25]
	s_waitcnt lgkmcnt(0)
	; wave barrier
	s_waitcnt lgkmcnt(0)
	ds_read_b128 v[220:223], v232
	ds_read_b128 v[224:227], v232 offset:224
	ds_read_b128 v[212:215], v232 offset:448
	;; [unrolled: 1-line block ×12, first 2 shown]
	s_and_saveexec_b64 s[0:1], vcc
	s_cbranch_execz .LBB0_11
; %bb.10:
	ds_read_b128 v[172:175], v255 offset:208
	ds_read_b128 v[52:55], v255 offset:432
	;; [unrolled: 1-line block ×13, first 2 shown]
.LBB0_11:
	s_or_b64 exec, exec, s[0:1]
	v_add_u32_e32 v137, 0xd0, v0
	s_waitcnt lgkmcnt(11)
	v_add_f64 v[0:1], v[220:221], v[224:225]
	v_add_f64 v[2:3], v[222:223], v[226:227]
	s_waitcnt lgkmcnt(0)
	v_add_f64 v[12:13], v[226:227], -v[230:231]
	s_mov_b32 s2, 0x4267c47c
	s_mov_b32 s3, 0xbfddbe06
	v_add_f64 v[6:7], v[224:225], v[228:229]
	s_mov_b32 s0, 0xe00740e9
	s_mov_b32 s1, 0x3fec55a7
	v_add_f64 v[0:1], v[0:1], v[212:213]
	v_add_f64 v[2:3], v[2:3], v[214:215]
	;; [unrolled: 1-line block ×3, first 2 shown]
	buffer_store_dword v11, off, s[48:51], 0 offset:12 ; 4-byte Folded Spill
	v_add_f64 v[10:11], v[224:225], -v[228:229]
	s_mov_b32 s6, 0x42a4c3d2
	s_mov_b32 s7, 0xbfea55e2
	s_mov_b32 s4, 0x1ea71119
	v_add_f64 v[0:1], v[0:1], v[204:205]
	v_add_f64 v[2:3], v[2:3], v[206:207]
	s_mov_b32 s25, 0x3fddbe06
	s_mov_b32 s24, s2
	s_mov_b32 s5, 0x3fe22d96
	s_mov_b32 s14, 0x66966769
	s_mov_b32 s15, 0xbfefc445
	s_mov_b32 s12, 0xebaa3ed8
	v_add_f64 v[0:1], v[0:1], v[196:197]
	v_add_f64 v[2:3], v[2:3], v[198:199]
	s_mov_b32 s39, 0x3fea55e2
	s_mov_b32 s38, s6
	s_mov_b32 s13, 0x3fbedb7d
	;; [unrolled: 8-line block ×4, first 2 shown]
	s_mov_b32 s26, 0xd0032e0c
	s_mov_b32 s34, 0x93053d00
	;; [unrolled: 1-line block ×3, first 2 shown]
	v_add_f64 v[0:1], v[0:1], v[184:185]
	v_add_f64 v[2:3], v[2:3], v[186:187]
	s_mov_b32 s35, 0xbfef11f4
	v_mul_f64 v[16:17], v[8:9], s[26:27]
	s_mov_b32 s43, 0x3fe5384d
	s_mov_b32 s42, s28
	;; [unrolled: 1-line block ×4, first 2 shown]
	v_add_f64 v[0:1], v[0:1], v[192:193]
	v_add_f64 v[2:3], v[2:3], v[194:195]
	v_fma_f64 v[18:19], v[10:11], s[42:43], v[16:17]
	v_fma_f64 v[16:17], v[10:11], s[28:29], v[16:17]
	; wave barrier
	v_add_f64 v[0:1], v[0:1], v[200:201]
	v_add_f64 v[2:3], v[2:3], v[202:203]
	;; [unrolled: 1-line block ×9, first 2 shown]
	v_mul_f64 v[0:1], v[12:13], s[2:3]
	v_add_f64 v[178:179], v[2:3], v[230:231]
	v_fma_f64 v[2:3], v[6:7], s[0:1], v[0:1]
	v_fma_f64 v[0:1], v[6:7], s[0:1], -v[0:1]
	v_add_f64 v[233:234], v[220:221], v[2:3]
	v_mul_f64 v[2:3], v[8:9], s[0:1]
	v_add_f64 v[226:227], v[220:221], v[0:1]
	v_fma_f64 v[0:1], v[10:11], s[2:3], v[2:3]
	v_fma_f64 v[14:15], v[10:11], s[24:25], v[2:3]
	v_add_f64 v[228:229], v[222:223], v[0:1]
	v_mul_f64 v[0:1], v[12:13], s[6:7]
	v_add_f64 v[224:225], v[222:223], v[14:15]
	v_fma_f64 v[2:3], v[6:7], s[4:5], v[0:1]
	v_fma_f64 v[0:1], v[6:7], s[4:5], -v[0:1]
	v_add_f64 v[230:231], v[220:221], v[2:3]
	v_mul_f64 v[2:3], v[8:9], s[4:5]
	v_add_f64 v[243:244], v[220:221], v[0:1]
	v_fma_f64 v[0:1], v[10:11], s[6:7], v[2:3]
	v_fma_f64 v[14:15], v[10:11], s[38:39], v[2:3]
	v_add_f64 v[245:246], v[222:223], v[0:1]
	;; [unrolled: 10-line block ×3, first 2 shown]
	v_mul_f64 v[0:1], v[12:13], s[18:19]
	v_add_f64 v[235:236], v[222:223], v[14:15]
	v_fma_f64 v[2:3], v[6:7], s[16:17], v[0:1]
	v_fma_f64 v[0:1], v[6:7], s[16:17], -v[0:1]
	v_add_f64 v[247:248], v[220:221], v[2:3]
	v_mul_f64 v[2:3], v[8:9], s[16:17]
	v_add_f64 v[253:254], v[220:221], v[0:1]
	v_mul_f64 v[8:9], v[8:9], s[34:35]
	v_fma_f64 v[14:15], v[10:11], s[40:41], v[2:3]
	v_fma_f64 v[0:1], v[10:11], s[18:19], v[2:3]
	;; [unrolled: 1-line block ×4, first 2 shown]
	v_add_f64 v[10:11], v[212:213], v[216:217]
	v_add_f64 v[212:213], v[212:213], -v[216:217]
	v_add_f64 v[251:252], v[222:223], v[14:15]
	v_mul_f64 v[14:15], v[12:13], s[28:29]
	v_mul_f64 v[12:13], v[12:13], s[36:37]
	v_add_f64 v[0:1], v[222:223], v[0:1]
	v_add_f64 v[22:23], v[222:223], v[22:23]
	v_add_f64 v[8:9], v[222:223], v[8:9]
	v_fma_f64 v[2:3], v[6:7], s[26:27], v[14:15]
	v_fma_f64 v[14:15], v[6:7], s[26:27], -v[14:15]
	v_fma_f64 v[20:21], v[6:7], s[34:35], v[12:13]
	v_fma_f64 v[6:7], v[6:7], s[34:35], -v[12:13]
	v_add_f64 v[12:13], v[214:215], v[218:219]
	v_add_f64 v[214:215], v[214:215], -v[218:219]
	v_add_f64 v[2:3], v[220:221], v[2:3]
	v_add_f64 v[14:15], v[220:221], v[14:15]
	;; [unrolled: 1-line block ×4, first 2 shown]
	v_mul_f64 v[220:221], v[12:13], s[4:5]
	v_mul_f64 v[216:217], v[214:215], s[6:7]
	v_fma_f64 v[222:223], v[212:213], s[38:39], v[220:221]
	v_fma_f64 v[218:219], v[10:11], s[4:5], v[216:217]
	v_fma_f64 v[216:217], v[10:11], s[4:5], -v[216:217]
	v_fma_f64 v[220:221], v[212:213], s[6:7], v[220:221]
	v_add_f64 v[222:223], v[222:223], v[224:225]
	v_mul_f64 v[224:225], v[214:215], s[18:19]
	v_add_f64 v[216:217], v[216:217], v[226:227]
	v_add_f64 v[220:221], v[220:221], v[228:229]
	v_mul_f64 v[228:229], v[12:13], s[16:17]
	v_add_f64 v[218:219], v[218:219], v[233:234]
	v_mul_f64 v[233:234], v[214:215], s[36:37]
	v_fma_f64 v[226:227], v[10:11], s[16:17], v[224:225]
	v_fma_f64 v[224:225], v[10:11], s[16:17], -v[224:225]
	v_add_f64 v[226:227], v[226:227], v[230:231]
	v_fma_f64 v[230:231], v[212:213], s[40:41], v[228:229]
	v_add_f64 v[224:225], v[224:225], v[243:244]
	v_mul_f64 v[243:244], v[12:13], s[34:35]
	v_fma_f64 v[228:229], v[212:213], s[18:19], v[228:229]
	v_add_f64 v[230:231], v[230:231], v[241:242]
	v_fma_f64 v[241:242], v[10:11], s[34:35], v[233:234]
	v_fma_f64 v[233:234], v[10:11], s[34:35], -v[233:234]
	v_add_f64 v[228:229], v[228:229], v[245:246]
	v_fma_f64 v[245:246], v[212:213], s[44:45], v[243:244]
	v_add_f64 v[241:242], v[241:242], v[249:250]
	v_add_f64 v[233:234], v[233:234], v[237:238]
	v_fma_f64 v[237:238], v[212:213], s[36:37], v[243:244]
	v_add_f64 v[235:236], v[245:246], v[235:236]
	v_mul_f64 v[245:246], v[12:13], s[26:27]
	v_add_f64 v[237:238], v[237:238], v[239:240]
	v_mul_f64 v[239:240], v[214:215], s[42:43]
	v_fma_f64 v[243:244], v[10:11], s[26:27], v[239:240]
	v_fma_f64 v[239:240], v[10:11], s[26:27], -v[239:240]
	v_add_f64 v[243:244], v[243:244], v[247:248]
	v_fma_f64 v[247:248], v[212:213], s[28:29], v[245:246]
	v_fma_f64 v[245:246], v[212:213], s[42:43], v[245:246]
	v_add_f64 v[239:240], v[239:240], v[253:254]
	v_add_f64 v[247:248], v[247:248], v[251:252]
	;; [unrolled: 1-line block ×3, first 2 shown]
	v_mul_f64 v[245:246], v[214:215], s[30:31]
	v_mul_f64 v[214:215], v[214:215], s[24:25]
	v_fma_f64 v[249:250], v[10:11], s[12:13], v[245:246]
	v_fma_f64 v[245:246], v[10:11], s[12:13], -v[245:246]
	v_add_f64 v[2:3], v[249:250], v[2:3]
	v_mul_f64 v[249:250], v[12:13], s[12:13]
	v_add_f64 v[14:15], v[245:246], v[14:15]
	v_mul_f64 v[12:13], v[12:13], s[0:1]
	v_fma_f64 v[245:246], v[212:213], s[30:31], v[249:250]
	v_fma_f64 v[251:252], v[212:213], s[14:15], v[249:250]
	v_add_f64 v[16:17], v[245:246], v[16:17]
	v_fma_f64 v[245:246], v[10:11], s[0:1], v[214:215]
	v_fma_f64 v[10:11], v[10:11], s[0:1], -v[214:215]
	v_add_f64 v[18:19], v[251:252], v[18:19]
	v_add_f64 v[20:21], v[245:246], v[20:21]
	v_fma_f64 v[245:246], v[212:213], s[2:3], v[12:13]
	v_add_f64 v[6:7], v[10:11], v[6:7]
	v_fma_f64 v[10:11], v[212:213], s[24:25], v[12:13]
	v_add_f64 v[12:13], v[206:207], v[210:211]
	v_add_f64 v[206:207], v[206:207], -v[210:211]
	v_add_f64 v[22:23], v[245:246], v[22:23]
	v_add_f64 v[8:9], v[10:11], v[8:9]
	;; [unrolled: 1-line block ×3, first 2 shown]
	v_add_f64 v[204:205], v[204:205], -v[208:209]
	v_mul_f64 v[212:213], v[12:13], s[12:13]
	v_mul_f64 v[208:209], v[206:207], s[14:15]
	v_fma_f64 v[214:215], v[204:205], s[30:31], v[212:213]
	v_fma_f64 v[212:213], v[204:205], s[14:15], v[212:213]
	;; [unrolled: 1-line block ×3, first 2 shown]
	v_fma_f64 v[208:209], v[10:11], s[12:13], -v[208:209]
	v_add_f64 v[214:215], v[214:215], v[222:223]
	v_add_f64 v[212:213], v[212:213], v[220:221]
	v_mul_f64 v[220:221], v[12:13], s[34:35]
	v_add_f64 v[208:209], v[208:209], v[216:217]
	v_mul_f64 v[216:217], v[206:207], s[36:37]
	v_add_f64 v[210:211], v[210:211], v[218:219]
	v_fma_f64 v[222:223], v[204:205], s[44:45], v[220:221]
	v_fma_f64 v[220:221], v[204:205], s[36:37], v[220:221]
	;; [unrolled: 1-line block ×3, first 2 shown]
	v_fma_f64 v[216:217], v[10:11], s[34:35], -v[216:217]
	v_add_f64 v[222:223], v[222:223], v[230:231]
	v_add_f64 v[220:221], v[220:221], v[228:229]
	v_mul_f64 v[228:229], v[12:13], s[16:17]
	v_add_f64 v[216:217], v[216:217], v[224:225]
	v_mul_f64 v[224:225], v[206:207], s[40:41]
	v_add_f64 v[218:219], v[218:219], v[226:227]
	v_fma_f64 v[230:231], v[204:205], s[18:19], v[228:229]
	v_fma_f64 v[228:229], v[204:205], s[40:41], v[228:229]
	v_fma_f64 v[226:227], v[10:11], s[16:17], v[224:225]
	v_fma_f64 v[224:225], v[10:11], s[16:17], -v[224:225]
	v_add_f64 v[230:231], v[230:231], v[235:236]
	v_add_f64 v[228:229], v[228:229], v[237:238]
	v_mul_f64 v[237:238], v[12:13], s[0:1]
	v_add_f64 v[226:227], v[226:227], v[241:242]
	v_add_f64 v[224:225], v[224:225], v[233:234]
	v_mul_f64 v[233:234], v[206:207], s[24:25]
	v_fma_f64 v[241:242], v[204:205], s[2:3], v[237:238]
	v_fma_f64 v[237:238], v[204:205], s[24:25], v[237:238]
	;; [unrolled: 1-line block ×3, first 2 shown]
	v_fma_f64 v[233:234], v[10:11], s[0:1], -v[233:234]
	v_add_f64 v[241:242], v[241:242], v[247:248]
	v_add_f64 v[0:1], v[237:238], v[0:1]
	v_mul_f64 v[237:238], v[206:207], s[6:7]
	v_mul_f64 v[206:207], v[206:207], s[28:29]
	v_add_f64 v[233:234], v[233:234], v[239:240]
	v_add_f64 v[235:236], v[235:236], v[243:244]
	v_fma_f64 v[239:240], v[10:11], s[4:5], v[237:238]
	v_fma_f64 v[237:238], v[10:11], s[4:5], -v[237:238]
	v_add_f64 v[2:3], v[239:240], v[2:3]
	v_mul_f64 v[239:240], v[12:13], s[4:5]
	v_add_f64 v[14:15], v[237:238], v[14:15]
	v_mul_f64 v[12:13], v[12:13], s[26:27]
	v_fma_f64 v[237:238], v[204:205], s[6:7], v[239:240]
	v_fma_f64 v[243:244], v[204:205], s[38:39], v[239:240]
	v_add_f64 v[16:17], v[237:238], v[16:17]
	v_fma_f64 v[237:238], v[10:11], s[26:27], v[206:207]
	v_fma_f64 v[10:11], v[10:11], s[26:27], -v[206:207]
	v_add_f64 v[18:19], v[243:244], v[18:19]
	v_add_f64 v[20:21], v[237:238], v[20:21]
	v_fma_f64 v[237:238], v[204:205], s[42:43], v[12:13]
	v_add_f64 v[6:7], v[10:11], v[6:7]
	v_fma_f64 v[10:11], v[204:205], s[28:29], v[12:13]
	v_add_f64 v[12:13], v[198:199], v[202:203]
	v_add_f64 v[198:199], v[198:199], -v[202:203]
	v_add_f64 v[22:23], v[237:238], v[22:23]
	v_add_f64 v[8:9], v[10:11], v[8:9]
	;; [unrolled: 1-line block ×3, first 2 shown]
	v_add_f64 v[196:197], v[196:197], -v[200:201]
	v_mul_f64 v[204:205], v[12:13], s[16:17]
	v_mul_f64 v[200:201], v[198:199], s[18:19]
	v_fma_f64 v[206:207], v[196:197], s[40:41], v[204:205]
	v_fma_f64 v[204:205], v[196:197], s[18:19], v[204:205]
	v_fma_f64 v[202:203], v[10:11], s[16:17], v[200:201]
	v_fma_f64 v[200:201], v[10:11], s[16:17], -v[200:201]
	v_add_f64 v[206:207], v[206:207], v[214:215]
	v_add_f64 v[204:205], v[204:205], v[212:213]
	v_mul_f64 v[212:213], v[12:13], s[26:27]
	v_add_f64 v[200:201], v[200:201], v[208:209]
	v_mul_f64 v[208:209], v[198:199], s[42:43]
	v_add_f64 v[202:203], v[202:203], v[210:211]
	v_fma_f64 v[214:215], v[196:197], s[28:29], v[212:213]
	v_fma_f64 v[212:213], v[196:197], s[42:43], v[212:213]
	v_fma_f64 v[210:211], v[10:11], s[26:27], v[208:209]
	v_fma_f64 v[208:209], v[10:11], s[26:27], -v[208:209]
	v_add_f64 v[214:215], v[214:215], v[222:223]
	v_add_f64 v[212:213], v[212:213], v[220:221]
	v_mul_f64 v[220:221], v[12:13], s[0:1]
	v_add_f64 v[208:209], v[208:209], v[216:217]
	v_mul_f64 v[216:217], v[198:199], s[24:25]
	v_add_f64 v[210:211], v[210:211], v[218:219]
	;; [unrolled: 10-line block ×4, first 2 shown]
	v_fma_f64 v[233:234], v[10:11], s[34:35], v[228:229]
	v_fma_f64 v[228:229], v[10:11], s[34:35], -v[228:229]
	v_add_f64 v[2:3], v[233:234], v[2:3]
	v_mul_f64 v[233:234], v[12:13], s[34:35]
	v_add_f64 v[14:15], v[228:229], v[14:15]
	v_mul_f64 v[12:13], v[12:13], s[4:5]
	v_fma_f64 v[228:229], v[196:197], s[44:45], v[233:234]
	v_fma_f64 v[235:236], v[196:197], s[36:37], v[233:234]
	v_add_f64 v[16:17], v[228:229], v[16:17]
	v_fma_f64 v[228:229], v[10:11], s[4:5], v[198:199]
	v_fma_f64 v[10:11], v[10:11], s[4:5], -v[198:199]
	v_add_f64 v[18:19], v[235:236], v[18:19]
	v_add_f64 v[20:21], v[228:229], v[20:21]
	v_fma_f64 v[228:229], v[196:197], s[6:7], v[12:13]
	v_add_f64 v[6:7], v[10:11], v[6:7]
	v_fma_f64 v[10:11], v[196:197], s[38:39], v[12:13]
	v_add_f64 v[12:13], v[190:191], v[194:195]
	v_add_f64 v[190:191], v[190:191], -v[194:195]
	v_add_f64 v[22:23], v[228:229], v[22:23]
	v_add_f64 v[228:229], v[182:183], -v[186:187]
	v_add_f64 v[8:9], v[10:11], v[8:9]
	v_add_f64 v[10:11], v[188:189], v[192:193]
	v_add_f64 v[188:189], v[188:189], -v[192:193]
	v_mul_f64 v[196:197], v[12:13], s[26:27]
	v_mul_f64 v[192:193], v[190:191], s[28:29]
	v_fma_f64 v[198:199], v[188:189], s[42:43], v[196:197]
	v_fma_f64 v[196:197], v[188:189], s[28:29], v[196:197]
	v_fma_f64 v[194:195], v[10:11], s[26:27], v[192:193]
	v_fma_f64 v[192:193], v[10:11], s[26:27], -v[192:193]
	v_add_f64 v[198:199], v[198:199], v[206:207]
	v_add_f64 v[196:197], v[196:197], v[204:205]
	v_mul_f64 v[204:205], v[12:13], s[12:13]
	v_add_f64 v[192:193], v[192:193], v[200:201]
	v_mul_f64 v[200:201], v[190:191], s[30:31]
	v_add_f64 v[194:195], v[194:195], v[202:203]
	v_fma_f64 v[206:207], v[188:189], s[14:15], v[204:205]
	v_fma_f64 v[204:205], v[188:189], s[30:31], v[204:205]
	v_fma_f64 v[202:203], v[10:11], s[12:13], v[200:201]
	v_fma_f64 v[200:201], v[10:11], s[12:13], -v[200:201]
	v_add_f64 v[206:207], v[206:207], v[214:215]
	v_add_f64 v[204:205], v[204:205], v[212:213]
	v_mul_f64 v[212:213], v[12:13], s[4:5]
	v_add_f64 v[200:201], v[200:201], v[208:209]
	v_mul_f64 v[208:209], v[190:191], s[6:7]
	v_add_f64 v[202:203], v[202:203], v[210:211]
	;; [unrolled: 10-line block ×3, first 2 shown]
	v_fma_f64 v[222:223], v[188:189], s[36:37], v[220:221]
	v_fma_f64 v[220:221], v[188:189], s[44:45], v[220:221]
	;; [unrolled: 1-line block ×3, first 2 shown]
	v_fma_f64 v[216:217], v[10:11], s[34:35], -v[216:217]
	v_add_f64 v[222:223], v[222:223], v[230:231]
	v_add_f64 v[220:221], v[220:221], v[0:1]
	v_mul_f64 v[0:1], v[190:191], s[24:25]
	v_add_f64 v[216:217], v[216:217], v[224:225]
	v_add_f64 v[218:219], v[218:219], v[226:227]
	v_fma_f64 v[224:225], v[10:11], s[0:1], v[0:1]
	v_fma_f64 v[0:1], v[10:11], s[0:1], -v[0:1]
	v_add_f64 v[224:225], v[224:225], v[2:3]
	v_mul_f64 v[2:3], v[12:13], s[0:1]
	v_add_f64 v[14:15], v[0:1], v[14:15]
	v_fma_f64 v[0:1], v[188:189], s[24:25], v[2:3]
	v_fma_f64 v[226:227], v[188:189], s[2:3], v[2:3]
	v_add_f64 v[16:17], v[0:1], v[16:17]
	v_mul_f64 v[0:1], v[190:191], s[18:19]
	v_add_f64 v[18:19], v[226:227], v[18:19]
	v_add_f64 v[226:227], v[180:181], -v[184:185]
	v_fma_f64 v[2:3], v[10:11], s[16:17], v[0:1]
	v_fma_f64 v[0:1], v[10:11], s[16:17], -v[0:1]
	v_add_f64 v[10:11], v[180:181], v[184:185]
	v_mul_f64 v[180:181], v[228:229], s[36:37]
	v_add_f64 v[20:21], v[2:3], v[20:21]
	v_mul_f64 v[2:3], v[12:13], s[16:17]
	v_add_f64 v[6:7], v[0:1], v[6:7]
	v_fma_f64 v[12:13], v[188:189], s[40:41], v[2:3]
	v_fma_f64 v[0:1], v[188:189], s[18:19], v[2:3]
	v_mul_f64 v[188:189], v[228:229], s[24:25]
	v_add_f64 v[12:13], v[12:13], v[22:23]
	v_add_f64 v[22:23], v[182:183], v[186:187]
	;; [unrolled: 1-line block ×3, first 2 shown]
	v_fma_f64 v[0:1], v[10:11], s[34:35], v[180:181]
	v_fma_f64 v[180:181], v[10:11], s[34:35], -v[180:181]
	v_fma_f64 v[184:185], v[10:11], s[0:1], v[188:189]
	v_fma_f64 v[188:189], v[10:11], s[0:1], -v[188:189]
	v_mul_f64 v[182:183], v[22:23], s[34:35]
	v_mul_f64 v[190:191], v[22:23], s[0:1]
	v_add_f64 v[0:1], v[0:1], v[194:195]
	v_add_f64 v[180:181], v[180:181], v[192:193]
	;; [unrolled: 1-line block ×4, first 2 shown]
	v_fma_f64 v[2:3], v[226:227], s[44:45], v[182:183]
	v_fma_f64 v[182:183], v[226:227], s[36:37], v[182:183]
	;; [unrolled: 1-line block ×4, first 2 shown]
	v_add_f64 v[2:3], v[2:3], v[198:199]
	v_mul_f64 v[198:199], v[22:23], s[26:27]
	v_add_f64 v[182:183], v[182:183], v[196:197]
	v_mul_f64 v[196:197], v[228:229], s[28:29]
	;; [unrolled: 2-line block ×4, first 2 shown]
	v_fma_f64 v[194:195], v[226:227], s[42:43], v[198:199]
	v_fma_f64 v[198:199], v[226:227], s[28:29], v[198:199]
	;; [unrolled: 1-line block ×3, first 2 shown]
	v_fma_f64 v[196:197], v[10:11], s[26:27], -v[196:197]
	v_fma_f64 v[200:201], v[10:11], s[4:5], v[204:205]
	v_fma_f64 v[204:205], v[10:11], s[4:5], -v[204:205]
	v_fma_f64 v[202:203], v[226:227], s[6:7], v[206:207]
	v_fma_f64 v[206:207], v[226:227], s[38:39], v[206:207]
	v_add_f64 v[194:195], v[194:195], v[214:215]
	v_mul_f64 v[214:215], v[22:23], s[16:17]
	v_add_f64 v[192:193], v[192:193], v[210:211]
	v_add_f64 v[198:199], v[198:199], v[212:213]
	v_mul_f64 v[212:213], v[228:229], s[18:19]
	v_add_f64 v[196:197], v[196:197], v[208:209]
	v_add_f64 v[204:205], v[204:205], v[216:217]
	;; [unrolled: 1-line block ×4, first 2 shown]
	v_fma_f64 v[210:211], v[226:227], s[40:41], v[214:215]
	v_add_f64 v[202:203], v[202:203], v[222:223]
	v_fma_f64 v[208:209], v[10:11], s[16:17], v[212:213]
	v_add_f64 v[210:211], v[210:211], v[18:19]
	v_fma_f64 v[18:19], v[10:11], s[16:17], -v[212:213]
	v_add_f64 v[208:209], v[208:209], v[224:225]
	v_add_f64 v[212:213], v[18:19], v[14:15]
	v_fma_f64 v[14:15], v[226:227], s[18:19], v[214:215]
	v_add_f64 v[214:215], v[14:15], v[16:17]
	v_mul_f64 v[14:15], v[228:229], s[30:31]
	v_fma_f64 v[16:17], v[10:11], s[12:13], v[14:15]
	v_fma_f64 v[10:11], v[10:11], s[12:13], -v[14:15]
	v_add_f64 v[216:217], v[16:17], v[20:21]
	v_mul_f64 v[16:17], v[22:23], s[12:13]
	v_add_f64 v[220:221], v[10:11], v[6:7]
	v_fma_f64 v[18:19], v[226:227], s[14:15], v[16:17]
	v_fma_f64 v[6:7], v[226:227], s[30:31], v[16:17]
	v_add_f64 v[218:219], v[18:19], v[12:13]
	v_add_f64 v[222:223], v[6:7], v[8:9]
	ds_write_b128 v4, v[176:179]
	ds_write_b128 v4, v[0:3] offset:16
	ds_write_b128 v4, v[184:187] offset:32
	;; [unrolled: 1-line block ×12, first 2 shown]
	s_and_saveexec_b64 s[46:47], vcc
	s_cbranch_execz .LBB0_13
; %bb.12:
	v_add_f64 v[239:240], v[52:53], -v[24:25]
	v_add_f64 v[237:238], v[72:73], -v[29:30]
	v_add_f64 v[204:205], v[54:55], v[26:27]
	v_add_f64 v[224:225], v[76:77], -v[33:34]
	v_add_f64 v[202:203], v[74:75], v[31:32]
	v_add_f64 v[228:229], v[54:55], -v[26:27]
	v_add_f64 v[214:215], v[60:61], -v[64:65]
	v_add_f64 v[198:199], v[78:79], v[35:36]
	v_mul_f64 v[0:1], v[239:240], s[36:37]
	v_mul_f64 v[2:3], v[237:238], s[24:25]
	v_add_f64 v[230:231], v[74:75], -v[31:32]
	v_mul_f64 v[8:9], v[224:225], s[28:29]
	v_add_f64 v[226:227], v[52:53], v[24:25]
	v_mul_f64 v[12:13], v[228:229], s[36:37]
	v_add_f64 v[196:197], v[62:63], v[66:67]
	v_add_f64 v[222:223], v[78:79], -v[35:36]
	v_fma_f64 v[6:7], v[204:205], s[34:35], v[0:1]
	v_fma_f64 v[10:11], v[202:203], s[0:1], v[2:3]
	v_add_f64 v[220:221], v[72:73], v[29:30]
	v_mul_f64 v[14:15], v[214:215], s[38:39]
	v_fma_f64 v[18:19], v[198:199], s[26:27], v[8:9]
	v_mul_f64 v[20:21], v[230:231], s[24:25]
	v_fma_f64 v[22:23], v[226:227], s[34:35], -v[12:13]
	v_fma_f64 v[0:1], v[204:205], s[34:35], -v[0:1]
	v_add_f64 v[6:7], v[174:175], v[6:7]
	v_fma_f64 v[12:13], v[226:227], s[34:35], v[12:13]
	v_add_f64 v[208:209], v[56:57], -v[80:81]
	v_add_f64 v[218:219], v[62:63], -v[66:67]
	v_add_f64 v[210:211], v[76:77], v[33:34]
	v_mul_f64 v[176:177], v[222:223], s[28:29]
	v_fma_f64 v[178:179], v[196:197], s[4:5], v[14:15]
	v_fma_f64 v[180:181], v[220:221], s[0:1], -v[20:21]
	v_add_f64 v[6:7], v[10:11], v[6:7]
	v_add_f64 v[22:23], v[172:173], v[22:23]
	v_fma_f64 v[2:3], v[202:203], s[0:1], -v[2:3]
	v_fma_f64 v[20:21], v[220:221], s[0:1], v[20:21]
	v_add_f64 v[0:1], v[174:175], v[0:1]
	v_add_f64 v[12:13], v[172:173], v[12:13]
	v_add_f64 v[206:207], v[68:69], -v[84:85]
	v_add_f64 v[194:195], v[58:59], v[82:83]
	v_add_f64 v[6:7], v[18:19], v[6:7]
	v_add_f64 v[216:217], v[58:59], -v[82:83]
	v_add_f64 v[200:201], v[60:61], v[64:65]
	v_mul_f64 v[10:11], v[208:209], s[18:19]
	v_fma_f64 v[182:183], v[210:211], s[26:27], -v[176:177]
	v_add_f64 v[22:23], v[180:181], v[22:23]
	v_fma_f64 v[8:9], v[198:199], s[26:27], -v[8:9]
	v_add_f64 v[0:1], v[2:3], v[0:1]
	v_add_f64 v[6:7], v[178:179], v[6:7]
	v_mul_f64 v[178:179], v[218:219], s[38:39]
	v_fma_f64 v[2:3], v[210:211], s[26:27], v[176:177]
	v_add_f64 v[12:13], v[20:21], v[12:13]
	v_add_f64 v[192:193], v[70:71], v[86:87]
	v_add_f64 v[212:213], v[70:71], -v[86:87]
	v_mul_f64 v[16:17], v[206:207], s[30:31]
	v_fma_f64 v[18:19], v[194:195], s[16:17], v[10:11]
	v_add_f64 v[235:236], v[56:57], v[80:81]
	v_mul_f64 v[20:21], v[216:217], s[18:19]
	v_fma_f64 v[176:177], v[200:201], s[4:5], -v[178:179]
	v_add_f64 v[22:23], v[182:183], v[22:23]
	v_fma_f64 v[14:15], v[196:197], s[4:5], -v[14:15]
	v_add_f64 v[0:1], v[8:9], v[0:1]
	v_fma_f64 v[8:9], v[200:201], s[4:5], v[178:179]
	v_add_f64 v[2:3], v[2:3], v[12:13]
	v_add_f64 v[233:234], v[68:69], v[84:85]
	v_mul_f64 v[12:13], v[212:213], s[30:31]
	v_fma_f64 v[178:179], v[235:236], s[16:17], -v[20:21]
	v_add_f64 v[22:23], v[176:177], v[22:23]
	v_fma_f64 v[176:177], v[192:193], s[12:13], v[16:17]
	v_fma_f64 v[10:11], v[194:195], s[16:17], -v[10:11]
	v_add_f64 v[0:1], v[14:15], v[0:1]
	v_fma_f64 v[14:15], v[235:236], s[16:17], v[20:21]
	v_add_f64 v[2:3], v[8:9], v[2:3]
	v_add_f64 v[6:7], v[18:19], v[6:7]
	v_mul_f64 v[20:21], v[239:240], s[28:29]
	v_fma_f64 v[8:9], v[233:234], s[12:13], -v[12:13]
	v_add_f64 v[18:19], v[178:179], v[22:23]
	v_fma_f64 v[16:17], v[192:193], s[12:13], -v[16:17]
	v_add_f64 v[0:1], v[10:11], v[0:1]
	v_fma_f64 v[10:11], v[233:234], s[12:13], v[12:13]
	v_add_f64 v[2:3], v[14:15], v[2:3]
	v_mul_f64 v[12:13], v[237:238], s[30:31]
	v_add_f64 v[90:91], v[176:177], v[6:7]
	v_mul_f64 v[6:7], v[228:229], s[28:29]
	v_fma_f64 v[14:15], v[204:205], s[26:27], v[20:21]
	v_add_f64 v[88:89], v[8:9], v[18:19]
	v_add_f64 v[182:183], v[16:17], v[0:1]
	v_mul_f64 v[0:1], v[224:225], s[6:7]
	v_add_f64 v[180:181], v[10:11], v[2:3]
	v_fma_f64 v[2:3], v[202:203], s[12:13], v[12:13]
	v_mul_f64 v[8:9], v[230:231], s[30:31]
	v_fma_f64 v[10:11], v[226:227], s[26:27], -v[6:7]
	v_add_f64 v[14:15], v[174:175], v[14:15]
	v_fma_f64 v[20:21], v[204:205], s[26:27], -v[20:21]
	v_mul_f64 v[18:19], v[214:215], s[44:45]
	v_fma_f64 v[22:23], v[198:199], s[4:5], v[0:1]
	v_mul_f64 v[184:185], v[222:223], s[6:7]
	v_fma_f64 v[12:13], v[202:203], s[12:13], -v[12:13]
	v_fma_f64 v[186:187], v[220:221], s[12:13], -v[8:9]
	v_add_f64 v[10:11], v[172:173], v[10:11]
	v_add_f64 v[2:3], v[2:3], v[14:15]
	;; [unrolled: 1-line block ×3, first 2 shown]
	v_mul_f64 v[14:15], v[208:209], s[24:25]
	v_fma_f64 v[188:189], v[196:197], s[34:35], v[18:19]
	v_mul_f64 v[190:191], v[218:219], s[44:45]
	v_fma_f64 v[241:242], v[210:211], s[4:5], -v[184:185]
	v_fma_f64 v[0:1], v[198:199], s[4:5], -v[0:1]
	v_add_f64 v[10:11], v[186:187], v[10:11]
	v_add_f64 v[2:3], v[22:23], v[2:3]
	v_fma_f64 v[6:7], v[226:227], s[26:27], v[6:7]
	v_add_f64 v[12:13], v[12:13], v[20:21]
	v_mul_f64 v[16:17], v[206:207], s[18:19]
	v_fma_f64 v[22:23], v[194:195], s[0:1], v[14:15]
	v_mul_f64 v[20:21], v[216:217], s[24:25]
	v_fma_f64 v[186:187], v[200:201], s[34:35], -v[190:191]
	v_add_f64 v[10:11], v[241:242], v[10:11]
	v_add_f64 v[2:3], v[188:189], v[2:3]
	v_fma_f64 v[18:19], v[196:197], s[34:35], -v[18:19]
	v_fma_f64 v[8:9], v[220:221], s[12:13], v[8:9]
	v_add_f64 v[6:7], v[172:173], v[6:7]
	v_add_f64 v[0:1], v[0:1], v[12:13]
	v_mul_f64 v[12:13], v[212:213], s[18:19]
	v_fma_f64 v[188:189], v[235:236], s[0:1], -v[20:21]
	v_add_f64 v[10:11], v[186:187], v[10:11]
	v_fma_f64 v[186:187], v[192:193], s[16:17], v[16:17]
	v_fma_f64 v[14:15], v[194:195], s[0:1], -v[14:15]
	v_fma_f64 v[184:185], v[210:211], s[4:5], v[184:185]
	v_add_f64 v[6:7], v[8:9], v[6:7]
	v_add_f64 v[0:1], v[18:19], v[0:1]
	v_add_f64 v[2:3], v[22:23], v[2:3]
	v_fma_f64 v[8:9], v[233:234], s[16:17], -v[12:13]
	v_add_f64 v[10:11], v[188:189], v[10:11]
	v_fma_f64 v[16:17], v[192:193], s[16:17], -v[16:17]
	v_fma_f64 v[18:19], v[200:201], s[34:35], v[190:191]
	v_mul_f64 v[22:23], v[239:240], s[18:19]
	v_add_f64 v[6:7], v[184:185], v[6:7]
	v_add_f64 v[0:1], v[14:15], v[0:1]
	;; [unrolled: 1-line block ×3, first 2 shown]
	v_mul_f64 v[2:3], v[228:229], s[18:19]
	v_add_f64 v[184:185], v[8:9], v[10:11]
	v_fma_f64 v[8:9], v[235:236], s[0:1], v[20:21]
	v_mul_f64 v[10:11], v[237:238], s[42:43]
	v_fma_f64 v[14:15], v[204:205], s[16:17], v[22:23]
	v_add_f64 v[6:7], v[18:19], v[6:7]
	v_add_f64 v[190:191], v[16:17], v[0:1]
	v_mul_f64 v[0:1], v[230:231], s[42:43]
	v_fma_f64 v[16:17], v[226:227], s[16:17], -v[2:3]
	v_mul_f64 v[18:19], v[224:225], s[24:25]
	v_fma_f64 v[22:23], v[204:205], s[16:17], -v[22:23]
	v_fma_f64 v[20:21], v[202:203], s[26:27], v[10:11]
	v_add_f64 v[14:15], v[174:175], v[14:15]
	v_add_f64 v[6:7], v[8:9], v[6:7]
	v_mul_f64 v[8:9], v[222:223], s[24:25]
	v_fma_f64 v[188:189], v[220:221], s[26:27], -v[0:1]
	v_add_f64 v[16:17], v[172:173], v[16:17]
	v_mul_f64 v[241:242], v[214:215], s[14:15]
	v_fma_f64 v[243:244], v[198:199], s[0:1], v[18:19]
	v_mul_f64 v[245:246], v[218:219], s[14:15]
	v_add_f64 v[14:15], v[20:21], v[14:15]
	v_fma_f64 v[10:11], v[202:203], s[26:27], -v[10:11]
	v_fma_f64 v[247:248], v[210:211], s[0:1], -v[8:9]
	v_add_f64 v[22:23], v[174:175], v[22:23]
	v_add_f64 v[16:17], v[188:189], v[16:17]
	v_mul_f64 v[20:21], v[208:209], s[44:45]
	v_fma_f64 v[188:189], v[196:197], s[12:13], v[241:242]
	v_mul_f64 v[249:250], v[216:217], s[44:45]
	v_add_f64 v[14:15], v[243:244], v[14:15]
	v_fma_f64 v[251:252], v[200:201], s[12:13], -v[245:246]
	v_fma_f64 v[18:19], v[198:199], s[0:1], -v[18:19]
	v_add_f64 v[10:11], v[10:11], v[22:23]
	v_add_f64 v[16:17], v[247:248], v[16:17]
	v_fma_f64 v[12:13], v[233:234], s[16:17], v[12:13]
	v_fma_f64 v[22:23], v[194:195], s[34:35], v[20:21]
	v_mul_f64 v[247:248], v[212:213], s[38:39]
	v_add_f64 v[14:15], v[188:189], v[14:15]
	v_fma_f64 v[188:189], v[235:236], s[34:35], -v[249:250]
	v_fma_f64 v[2:3], v[226:227], s[16:17], v[2:3]
	v_fma_f64 v[241:242], v[196:197], s[12:13], -v[241:242]
	v_add_f64 v[16:17], v[251:252], v[16:17]
	v_add_f64 v[10:11], v[18:19], v[10:11]
	v_mul_f64 v[243:244], v[206:207], s[38:39]
	v_fma_f64 v[0:1], v[220:221], s[26:27], v[0:1]
	v_add_f64 v[14:15], v[22:23], v[14:15]
	v_fma_f64 v[22:23], v[233:234], s[4:5], -v[247:248]
	v_add_f64 v[251:252], v[172:173], v[2:3]
	v_fma_f64 v[20:21], v[194:195], s[34:35], -v[20:21]
	v_add_f64 v[16:17], v[188:189], v[16:17]
	v_add_f64 v[10:11], v[241:242], v[10:11]
	v_add_f64 v[188:189], v[12:13], v[6:7]
	v_fma_f64 v[6:7], v[210:211], s[0:1], v[8:9]
	v_mul_f64 v[8:9], v[239:240], s[14:15]
	v_fma_f64 v[18:19], v[192:193], s[4:5], v[243:244]
	v_add_f64 v[12:13], v[0:1], v[251:252]
	v_mov_b32_e32 v0, v168
	v_add_f64 v[176:177], v[22:23], v[16:17]
	v_add_f64 v[10:11], v[20:21], v[10:11]
	v_mul_f64 v[16:17], v[228:229], s[14:15]
	v_mul_f64 v[20:21], v[237:238], s[36:37]
	v_fma_f64 v[22:23], v[204:205], s[12:13], v[8:9]
	v_mov_b32_e32 v1, v169
	v_mov_b32_e32 v2, v170
	;; [unrolled: 1-line block ×4, first 2 shown]
	v_add_f64 v[178:179], v[18:19], v[14:15]
	v_fma_f64 v[14:15], v[192:193], s[4:5], -v[243:244]
	v_fma_f64 v[18:19], v[200:201], s[12:13], v[245:246]
	v_add_f64 v[6:7], v[6:7], v[12:13]
	v_fma_f64 v[12:13], v[233:234], s[4:5], v[247:248]
	v_fma_f64 v[241:242], v[235:236], s[34:35], v[249:250]
	v_mul_f64 v[249:250], v[230:231], s[36:37]
	v_fma_f64 v[243:244], v[226:227], s[12:13], -v[16:17]
	v_mul_f64 v[245:246], v[224:225], s[40:41]
	v_fma_f64 v[247:248], v[202:203], s[34:35], v[20:21]
	v_add_f64 v[22:23], v[174:175], v[22:23]
	v_fma_f64 v[8:9], v[204:205], s[12:13], -v[8:9]
	v_mov_b32_e32 v169, v166
	v_mov_b32_e32 v168, v165
	;; [unrolled: 1-line block ×32, first 2 shown]
	v_add_f64 v[6:7], v[18:19], v[6:7]
	v_mul_f64 v[18:19], v[222:223], s[40:41]
	v_fma_f64 v[251:252], v[220:221], s[34:35], -v[249:250]
	v_add_f64 v[243:244], v[172:173], v[243:244]
	v_mul_f64 v[253:254], v[214:215], s[24:25]
	v_fma_f64 v[4:5], v[198:199], s[16:17], v[245:246]
	v_add_f64 v[22:23], v[247:248], v[22:23]
	v_fma_f64 v[20:21], v[202:203], s[34:35], -v[20:21]
	v_add_f64 v[8:9], v[174:175], v[8:9]
	v_mov_b32_e32 v135, v130
	v_mov_b32_e32 v134, v129
	v_mov_b32_e32 v133, v128
	v_mov_b32_e32 v138, v132
	v_mov_b32_e32 v132, v127
	v_mov_b32_e32 v131, v126
	v_mov_b32_e32 v130, v125
	v_mov_b32_e32 v129, v124
	v_mov_b32_e32 v127, v123
	v_mov_b32_e32 v126, v122
	v_mov_b32_e32 v125, v121
	v_mov_b32_e32 v124, v120
	v_mov_b32_e32 v123, v119
	v_mov_b32_e32 v122, v118
	v_mov_b32_e32 v121, v117
	v_mov_b32_e32 v120, v116
	v_mov_b32_e32 v119, v115
	v_mov_b32_e32 v118, v114
	v_mov_b32_e32 v117, v113
	v_mov_b32_e32 v116, v112
	v_mov_b32_e32 v115, v111
	v_mov_b32_e32 v114, v110
	v_mov_b32_e32 v113, v109
	v_mov_b32_e32 v112, v108
	v_mov_b32_e32 v111, v107
	buffer_store_dword v88, off, s[48:51], 0 offset:192 ; 4-byte Folded Spill
	s_nop 0
	buffer_store_dword v89, off, s[48:51], 0 offset:196 ; 4-byte Folded Spill
	buffer_store_dword v90, off, s[48:51], 0 offset:200 ; 4-byte Folded Spill
	buffer_store_dword v91, off, s[48:51], 0 offset:204 ; 4-byte Folded Spill
	v_mov_b32_e32 v110, v106
	v_mov_b32_e32 v109, v105
	;; [unrolled: 1-line block ×11, first 2 shown]
	v_mul_f64 v[24:25], v[218:219], s[24:25]
	v_fma_f64 v[26:27], v[210:211], s[16:17], -v[18:19]
	v_add_f64 v[243:244], v[251:252], v[243:244]
	v_mul_f64 v[247:248], v[208:209], s[6:7]
	v_fma_f64 v[251:252], v[196:197], s[0:1], v[253:254]
	v_add_f64 v[4:5], v[4:5], v[22:23]
	v_fma_f64 v[22:23], v[198:199], s[16:17], -v[245:246]
	v_add_f64 v[8:9], v[20:21], v[8:9]
	v_mov_b32_e32 v94, v32
	v_mul_f64 v[20:21], v[216:217], s[6:7]
	v_fma_f64 v[245:246], v[200:201], s[0:1], -v[24:25]
	v_add_f64 v[26:27], v[26:27], v[243:244]
	v_mov_b32_e32 v86, v28
	v_mov_b32_e32 v93, v31
	;; [unrolled: 1-line block ×4, first 2 shown]
	v_mul_f64 v[28:29], v[206:207], s[28:29]
	v_fma_f64 v[30:31], v[194:195], s[4:5], v[247:248]
	v_add_f64 v[4:5], v[251:252], v[4:5]
	v_fma_f64 v[251:252], v[196:197], s[0:1], -v[253:254]
	v_add_f64 v[8:9], v[22:23], v[8:9]
	v_add_f64 v[6:7], v[241:242], v[6:7]
	v_mul_f64 v[22:23], v[212:213], s[28:29]
	v_fma_f64 v[253:254], v[235:236], s[4:5], -v[20:21]
	v_add_f64 v[26:27], v[245:246], v[26:27]
	v_add_f64 v[243:244], v[14:15], v[10:11]
	v_fma_f64 v[10:11], v[192:193], s[26:27], v[28:29]
	v_fma_f64 v[14:15], v[194:195], s[4:5], -v[247:248]
	v_add_f64 v[8:9], v[251:252], v[8:9]
	v_add_f64 v[4:5], v[30:31], v[4:5]
	;; [unrolled: 1-line block ×3, first 2 shown]
	v_mul_f64 v[6:7], v[239:240], s[6:7]
	v_fma_f64 v[30:31], v[233:234], s[26:27], -v[22:23]
	v_add_f64 v[26:27], v[253:254], v[26:27]
	v_fma_f64 v[12:13], v[192:193], s[26:27], -v[28:29]
	v_mul_f64 v[28:29], v[224:225], s[36:37]
	v_add_f64 v[8:9], v[14:15], v[8:9]
	v_add_f64 v[247:248], v[10:11], v[4:5]
	v_mul_f64 v[4:5], v[228:229], s[6:7]
	v_mul_f64 v[10:11], v[237:238], s[18:19]
	v_fma_f64 v[14:15], v[204:205], s[4:5], v[6:7]
	v_add_f64 v[245:246], v[30:31], v[26:27]
	v_mov_b32_e32 v98, v36
	v_fma_f64 v[26:27], v[220:221], s[34:35], v[249:250]
	v_add_f64 v[251:252], v[12:13], v[8:9]
	v_mul_f64 v[8:9], v[230:231], s[18:19]
	v_fma_f64 v[12:13], v[226:227], s[4:5], -v[4:5]
	v_fma_f64 v[30:31], v[202:203], s[16:17], v[10:11]
	v_add_f64 v[14:15], v[174:175], v[14:15]
	v_mul_f64 v[253:254], v[214:215], s[42:43]
	v_mov_b32_e32 v97, v35
	v_mov_b32_e32 v96, v34
	v_mov_b32_e32 v95, v33
	v_fma_f64 v[249:250], v[220:221], s[16:17], -v[8:9]
	v_add_f64 v[12:13], v[172:173], v[12:13]
	v_fma_f64 v[32:33], v[198:199], s[34:35], v[28:29]
	v_add_f64 v[14:15], v[30:31], v[14:15]
	v_mul_f64 v[34:35], v[208:209], s[30:31]
	v_fma_f64 v[16:17], v[226:227], s[12:13], v[16:17]
	v_mov_b32_e32 v99, v37
	v_fma_f64 v[6:7], v[204:205], s[4:5], -v[6:7]
	v_fma_f64 v[10:11], v[202:203], s[16:17], -v[10:11]
	v_add_f64 v[12:13], v[249:250], v[12:13]
	v_fma_f64 v[249:250], v[196:197], s[26:27], v[253:254]
	v_add_f64 v[14:15], v[32:33], v[14:15]
	v_fma_f64 v[36:37], v[194:195], s[12:13], v[34:35]
	;; [unrolled: 2-line block ×4, first 2 shown]
	v_fma_f64 v[28:29], v[198:199], s[34:35], -v[28:29]
	v_fma_f64 v[8:9], v[220:221], s[16:17], v[8:9]
	v_add_f64 v[14:15], v[249:250], v[14:15]
	v_mul_f64 v[237:238], v[237:238], s[6:7]
	v_add_f64 v[16:17], v[26:27], v[16:17]
	v_mul_f64 v[26:27], v[222:223], s[36:37]
	v_add_f64 v[6:7], v[10:11], v[6:7]
	v_add_f64 v[4:5], v[172:173], v[4:5]
	;; [unrolled: 1-line block ×5, first 2 shown]
	v_mul_f64 v[36:37], v[239:240], s[2:3]
	v_add_f64 v[16:17], v[18:19], v[16:17]
	v_mul_f64 v[18:19], v[218:219], s[42:43]
	v_fma_f64 v[30:31], v[210:211], s[34:35], -v[26:27]
	v_fma_f64 v[10:11], v[196:197], s[26:27], -v[253:254]
	v_add_f64 v[6:7], v[28:29], v[6:7]
	v_fma_f64 v[26:27], v[210:211], s[34:35], v[26:27]
	v_add_f64 v[4:5], v[8:9], v[4:5]
	v_fma_f64 v[239:240], v[204:205], s[0:1], v[36:37]
	v_mul_f64 v[8:9], v[224:225], s[14:15]
	v_fma_f64 v[28:29], v[202:203], s[4:5], v[237:238]
	v_add_f64 v[54:55], v[54:55], v[74:75]
	v_add_f64 v[52:53], v[52:53], v[72:73]
	v_fma_f64 v[24:25], v[200:201], s[0:1], v[24:25]
	v_fma_f64 v[32:33], v[200:201], s[26:27], -v[18:19]
	v_fma_f64 v[34:35], v[194:195], s[12:13], -v[34:35]
	v_add_f64 v[224:225], v[174:175], v[239:240]
	v_add_f64 v[6:7], v[10:11], v[6:7]
	v_fma_f64 v[10:11], v[200:201], s[26:27], v[18:19]
	v_add_f64 v[4:5], v[26:27], v[4:5]
	v_mul_f64 v[18:19], v[214:215], s[18:19]
	v_fma_f64 v[26:27], v[198:199], s[12:13], v[8:9]
	v_add_f64 v[54:55], v[54:55], v[78:79]
	v_add_f64 v[52:53], v[52:53], v[76:77]
	;; [unrolled: 1-line block ×3, first 2 shown]
	v_fma_f64 v[20:21], v[235:236], s[4:5], v[20:21]
	v_add_f64 v[16:17], v[24:25], v[16:17]
	v_add_f64 v[12:13], v[30:31], v[12:13]
	v_mul_f64 v[30:31], v[206:207], s[24:25]
	v_add_f64 v[6:7], v[34:35], v[6:7]
	v_fma_f64 v[34:35], v[196:197], s[16:17], v[18:19]
	v_add_f64 v[52:53], v[52:53], v[60:61]
	v_add_f64 v[26:27], v[26:27], v[28:29]
	;; [unrolled: 1-line block ×3, first 2 shown]
	v_mov_b32_e32 v128, v38
	v_mov_b32_e32 v171, v137
	;; [unrolled: 1-line block ×3, first 2 shown]
	v_mul_f64 v[38:39], v[212:213], s[24:25]
	v_add_f64 v[16:17], v[20:21], v[16:17]
	v_fma_f64 v[20:21], v[192:193], s[0:1], v[30:31]
	v_fma_f64 v[30:31], v[192:193], s[0:1], -v[30:31]
	v_add_f64 v[26:27], v[34:35], v[26:27]
	v_add_f64 v[28:29], v[28:29], v[58:59]
	;; [unrolled: 1-line block ×4, first 2 shown]
	v_fma_f64 v[32:33], v[233:234], s[0:1], -v[38:39]
	v_fma_f64 v[36:37], v[204:205], s[0:1], -v[36:37]
	v_mul_f64 v[60:61], v[230:231], s[6:7]
	v_add_f64 v[54:55], v[30:31], v[6:7]
	v_fma_f64 v[6:7], v[233:234], s[0:1], v[38:39]
	v_mul_f64 v[38:39], v[228:229], s[2:3]
	v_add_f64 v[28:29], v[28:29], v[70:71]
	v_add_f64 v[34:35], v[34:35], v[68:69]
	v_mul_f64 v[68:69], v[222:223], s[14:15]
	v_fma_f64 v[70:71], v[202:203], s[4:5], -v[237:238]
	v_add_f64 v[36:37], v[174:175], v[36:37]
	v_fma_f64 v[84:85], v[220:221], s[4:5], v[60:61]
	v_fma_f64 v[60:61], v[220:221], s[4:5], -v[60:61]
	v_fma_f64 v[62:63], v[226:227], s[0:1], v[38:39]
	v_fma_f64 v[38:39], v[226:227], s[0:1], -v[38:39]
	v_add_f64 v[28:29], v[28:29], v[106:107]
	v_add_f64 v[34:35], v[34:35], v[104:105]
	v_mul_f64 v[24:25], v[216:217], s[30:31]
	v_mul_f64 v[58:59], v[218:219], s[18:19]
	v_fma_f64 v[8:9], v[198:199], s[12:13], -v[8:9]
	v_add_f64 v[36:37], v[70:71], v[36:37]
	v_add_f64 v[62:63], v[172:173], v[62:63]
	;; [unrolled: 1-line block ×5, first 2 shown]
	v_fma_f64 v[70:71], v[210:211], s[12:13], v[68:69]
	v_fma_f64 v[68:69], v[210:211], s[12:13], -v[68:69]
	v_fma_f64 v[249:250], v[235:236], s[12:13], -v[24:25]
	v_fma_f64 v[24:25], v[235:236], s[12:13], v[24:25]
	v_add_f64 v[62:63], v[84:85], v[62:63]
	v_add_f64 v[38:39], v[60:61], v[38:39]
	;; [unrolled: 1-line block ×5, first 2 shown]
	v_mul_f64 v[10:11], v[208:209], s[28:29]
	v_mul_f64 v[56:57], v[216:217], s[28:29]
	v_fma_f64 v[18:19], v[196:197], s[16:17], -v[18:19]
	v_add_f64 v[8:9], v[8:9], v[36:37]
	v_fma_f64 v[36:37], v[200:201], s[16:17], v[58:59]
	v_add_f64 v[60:61], v[70:71], v[62:63]
	v_fma_f64 v[58:59], v[200:201], s[16:17], -v[58:59]
	v_add_f64 v[38:39], v[68:69], v[38:39]
	v_add_f64 v[28:29], v[28:29], v[97:98]
	;; [unrolled: 1-line block ×4, first 2 shown]
	v_mul_f64 v[24:25], v[206:207], s[36:37]
	v_fma_f64 v[30:31], v[194:195], s[26:27], v[10:11]
	v_mul_f64 v[52:53], v[212:213], s[36:37]
	v_fma_f64 v[10:11], v[194:195], s[26:27], -v[10:11]
	v_add_f64 v[8:9], v[18:19], v[8:9]
	v_fma_f64 v[18:19], v[235:236], s[26:27], v[56:57]
	v_add_f64 v[36:37], v[36:37], v[60:61]
	v_fma_f64 v[56:57], v[235:236], s[26:27], -v[56:57]
	v_add_f64 v[38:39], v[58:59], v[38:39]
	v_add_f64 v[28:29], v[28:29], v[93:94]
	;; [unrolled: 1-line block ×3, first 2 shown]
	v_mov_b32_e32 v104, v108
	v_fma_f64 v[58:59], v[192:193], s[34:35], -v[24:25]
	v_add_f64 v[8:9], v[10:11], v[8:9]
	v_fma_f64 v[10:11], v[233:234], s[34:35], v[52:53]
	v_add_f64 v[18:19], v[18:19], v[36:37]
	v_mov_b32_e32 v105, v109
	v_mov_b32_e32 v106, v110
	v_mov_b32_e32 v107, v111
	v_mov_b32_e32 v108, v112
	v_fma_f64 v[22:23], v[233:234], s[26:27], v[22:23]
	v_mov_b32_e32 v109, v113
	v_mov_b32_e32 v110, v114
	;; [unrolled: 1-line block ×19, first 2 shown]
	v_add_f64 v[36:37], v[56:57], v[38:39]
	v_mov_b32_e32 v38, v128
	v_mov_b32_e32 v128, v133
	;; [unrolled: 1-line block ×6, first 2 shown]
	v_add_f64 v[62:63], v[28:29], v[89:90]
	v_add_f64 v[60:61], v[34:35], v[87:88]
	v_mov_b32_e32 v134, v140
	v_mov_b32_e32 v135, v141
	v_mov_b32_e32 v136, v142
	v_mov_b32_e32 v140, v143
	v_add_f64 v[58:59], v[58:59], v[8:9]
	v_add_f64 v[56:57], v[10:11], v[18:19]
	;; [unrolled: 1-line block ×3, first 2 shown]
	v_fma_f64 v[30:31], v[233:234], s[34:35], -v[52:53]
	v_mov_b32_e32 v141, v144
	v_mov_b32_e32 v142, v145
	;; [unrolled: 1-line block ×4, first 2 shown]
	v_add_f64 v[52:53], v[6:7], v[4:5]
	v_add_f64 v[12:13], v[249:250], v[12:13]
	v_mov_b32_e32 v145, v148
	v_mov_b32_e32 v146, v149
	;; [unrolled: 1-line block ×4, first 2 shown]
	v_add_f64 v[249:250], v[22:23], v[16:17]
	v_mov_b32_e32 v149, v152
	v_mov_b32_e32 v150, v153
	;; [unrolled: 1-line block ×22, first 2 shown]
	ds_write_b128 v255, v[60:63] offset:2704
	ds_write_b128 v255, v[56:59] offset:2720
	;; [unrolled: 1-line block ×7, first 2 shown]
	v_mov_b32_e32 v170, v2
	v_mov_b32_e32 v169, v1
	;; [unrolled: 1-line block ×3, first 2 shown]
	buffer_load_dword v0, off, s[48:51], 0 offset:192 ; 4-byte Folded Reload
	buffer_load_dword v1, off, s[48:51], 0 offset:196 ; 4-byte Folded Reload
	;; [unrolled: 1-line block ×4, first 2 shown]
	v_fma_f64 v[24:25], v[192:193], s[34:35], v[24:25]
	v_add_f64 v[66:67], v[20:21], v[14:15]
	v_add_f64 v[64:65], v[32:33], v[12:13]
	;; [unrolled: 1-line block ×3, first 2 shown]
	v_mov_b32_e32 v132, v138
	v_mov_b32_e32 v28, v86
	;; [unrolled: 1-line block ×3, first 2 shown]
	v_add_f64 v[70:71], v[24:25], v[26:27]
	s_waitcnt vmcnt(0)
	ds_write_b128 v255, v[0:3] offset:2816
	ds_write_b128 v255, v[184:187] offset:2832
	;; [unrolled: 1-line block ×6, first 2 shown]
.LBB0_13:
	s_or_b64 exec, exec, s[46:47]
	s_waitcnt lgkmcnt(0)
	; wave barrier
	s_waitcnt lgkmcnt(0)
	ds_read_b128 v[0:3], v232 offset:1456
	ds_read_b128 v[52:55], v232
	ds_read_b128 v[56:59], v232 offset:208
	ds_read_b128 v[60:63], v232 offset:1664
	;; [unrolled: 1-line block ×8, first 2 shown]
	s_waitcnt lgkmcnt(9)
	v_mul_f64 v[4:5], v[102:103], v[2:3]
	v_mul_f64 v[6:7], v[102:103], v[0:1]
	s_waitcnt lgkmcnt(6)
	v_mul_f64 v[8:9], v[102:103], v[62:63]
	v_mul_f64 v[10:11], v[102:103], v[60:61]
	ds_read_b128 v[88:91], v232 offset:832
	ds_read_b128 v[92:95], v232 offset:1040
	;; [unrolled: 1-line block ×4, first 2 shown]
	s_waitcnt lgkmcnt(6)
	v_mul_f64 v[12:13], v[110:111], v[78:79]
	v_mul_f64 v[14:15], v[110:111], v[76:77]
	s_waitcnt lgkmcnt(5)
	v_mul_f64 v[16:17], v[114:115], v[82:83]
	v_fma_f64 v[0:1], v[100:101], v[0:1], v[4:5]
	v_fma_f64 v[2:3], v[100:101], v[2:3], -v[6:7]
	v_fma_f64 v[4:5], v[100:101], v[60:61], v[8:9]
	v_fma_f64 v[6:7], v[100:101], v[62:63], -v[10:11]
	v_mul_f64 v[8:9], v[106:107], v[66:67]
	v_mul_f64 v[10:11], v[106:107], v[64:65]
	;; [unrolled: 1-line block ×3, first 2 shown]
	s_waitcnt lgkmcnt(1)
	v_mul_f64 v[20:21], v[118:119], v[98:99]
	v_mul_f64 v[22:23], v[118:119], v[96:97]
	s_waitcnt lgkmcnt(0)
	v_mul_f64 v[24:25], v[122:123], v[174:175]
	v_mul_f64 v[26:27], v[122:123], v[172:173]
	v_fma_f64 v[12:13], v[108:109], v[76:77], v[12:13]
	v_fma_f64 v[8:9], v[104:105], v[64:65], v[8:9]
	v_fma_f64 v[10:11], v[104:105], v[66:67], -v[10:11]
	v_fma_f64 v[14:15], v[108:109], v[78:79], -v[14:15]
	v_fma_f64 v[16:17], v[112:113], v[80:81], v[16:17]
	v_fma_f64 v[18:19], v[112:113], v[82:83], -v[18:19]
	v_fma_f64 v[20:21], v[116:117], v[96:97], v[20:21]
	v_fma_f64 v[22:23], v[116:117], v[98:99], -v[22:23]
	v_add_f64 v[60:61], v[56:57], -v[4:5]
	v_add_f64 v[62:63], v[58:59], -v[6:7]
	v_fma_f64 v[4:5], v[120:121], v[172:173], v[24:25]
	v_fma_f64 v[6:7], v[120:121], v[174:175], -v[26:27]
	v_add_f64 v[0:1], v[52:53], -v[0:1]
	v_add_f64 v[2:3], v[54:55], -v[2:3]
	;; [unrolled: 1-line block ×12, first 2 shown]
	v_fma_f64 v[52:53], v[52:53], 2.0, -v[0:1]
	v_fma_f64 v[54:55], v[54:55], 2.0, -v[2:3]
	;; [unrolled: 1-line block ×14, first 2 shown]
	s_waitcnt lgkmcnt(0)
	; wave barrier
	ds_write_b128 v232, v[52:55]
	ds_write_b128 v232, v[0:3] offset:208
	ds_write_b128 v232, v[56:59] offset:416
	;; [unrolled: 1-line block ×13, first 2 shown]
	s_waitcnt lgkmcnt(0)
	; wave barrier
	s_waitcnt lgkmcnt(0)
	ds_read_b128 v[0:3], v232
	ds_read_b128 v[52:55], v232 offset:208
	ds_read_b128 v[56:59], v232 offset:416
	;; [unrolled: 1-line block ×11, first 2 shown]
	buffer_load_dword v16, off, s[48:51], 0 offset:176 ; 4-byte Folded Reload
	buffer_load_dword v17, off, s[48:51], 0 offset:180 ; 4-byte Folded Reload
	;; [unrolled: 1-line block ×4, first 2 shown]
	ds_read_b128 v[96:99], v232 offset:2496
	ds_read_b128 v[100:103], v232 offset:2704
	s_waitcnt lgkmcnt(11)
	v_mul_f64 v[4:5], v[142:143], v[58:59]
	v_mul_f64 v[6:7], v[142:143], v[56:57]
	s_waitcnt lgkmcnt(3)
	v_mul_f64 v[20:21], v[162:163], v[90:91]
	v_mul_f64 v[22:23], v[162:163], v[88:89]
	;; [unrolled: 3-line block ×3, first 2 shown]
	v_mul_f64 v[28:29], v[166:167], v[62:63]
	v_mul_f64 v[30:31], v[166:167], v[60:61]
	;; [unrolled: 1-line block ×4, first 2 shown]
	v_fma_f64 v[4:5], v[140:141], v[56:57], v[4:5]
	v_fma_f64 v[6:7], v[140:141], v[58:59], -v[6:7]
	v_fma_f64 v[20:21], v[160:161], v[88:89], v[20:21]
	v_fma_f64 v[22:23], v[160:161], v[90:91], -v[22:23]
	;; [unrolled: 2-line block ×4, first 2 shown]
	v_mul_f64 v[60:61], v[170:171], v[94:95]
	v_mul_f64 v[62:63], v[170:171], v[92:93]
	v_fma_f64 v[12:13], v[128:129], v[72:73], v[12:13]
	v_fma_f64 v[14:15], v[128:129], v[74:75], -v[14:15]
	v_mul_f64 v[32:33], v[158:159], v[70:71]
	v_mul_f64 v[34:35], v[158:159], v[68:69]
	s_mov_b32 s2, 0x37e14327
	s_mov_b32 s0, 0x36b3c0b5
	;; [unrolled: 1-line block ×6, first 2 shown]
	v_fma_f64 v[32:33], v[156:157], v[68:69], v[32:33]
	v_fma_f64 v[34:35], v[156:157], v[70:71], -v[34:35]
	s_mov_b32 s7, 0x3fe11646
	s_mov_b32 s5, 0xbfebfeb5
	v_mul_f64 v[36:37], v[154:155], v[78:79]
	v_mul_f64 v[38:39], v[154:155], v[76:77]
	;; [unrolled: 1-line block ×4, first 2 shown]
	s_mov_b32 s12, 0xaaaaaaaa
	s_mov_b32 s14, 0x5476071b
	;; [unrolled: 1-line block ×10, first 2 shown]
	v_fma_f64 v[36:37], v[152:153], v[76:77], v[36:37]
	v_fma_f64 v[38:39], v[152:153], v[78:79], -v[38:39]
	v_fma_f64 v[76:77], v[148:149], v[84:85], v[56:57]
	v_fma_f64 v[78:79], v[148:149], v[86:87], -v[58:59]
	s_waitcnt lgkmcnt(0)
	v_mul_f64 v[56:57], v[146:147], v[102:103]
	v_mul_f64 v[58:59], v[146:147], v[100:101]
	s_mov_b32 s24, 0x37c3f68c
	s_mov_b32 s25, 0xbfdc38aa
	s_waitcnt vmcnt(0)
	v_mul_f64 v[8:9], v[18:19], v[66:67]
	v_mul_f64 v[10:11], v[18:19], v[64:65]
	;; [unrolled: 1-line block ×3, first 2 shown]
	v_fma_f64 v[8:9], v[16:17], v[64:65], v[8:9]
	v_fma_f64 v[10:11], v[16:17], v[66:67], -v[10:11]
	v_mul_f64 v[16:17], v[126:127], v[82:83]
	v_fma_f64 v[18:19], v[124:125], v[82:83], -v[18:19]
	v_fma_f64 v[82:83], v[168:169], v[94:95], -v[62:63]
	v_add_f64 v[62:63], v[6:7], v[26:27]
	v_add_f64 v[6:7], v[6:7], -v[26:27]
	v_add_f64 v[26:27], v[10:11], v[22:23]
	v_fma_f64 v[16:17], v[124:125], v[80:81], v[16:17]
	v_fma_f64 v[80:81], v[168:169], v[92:93], v[60:61]
	v_add_f64 v[60:61], v[4:5], v[24:25]
	v_add_f64 v[4:5], v[4:5], -v[24:25]
	v_add_f64 v[24:25], v[8:9], v[20:21]
	v_add_f64 v[8:9], v[8:9], -v[20:21]
	v_add_f64 v[10:11], v[10:11], -v[22:23]
	v_add_f64 v[22:23], v[14:15], v[18:19]
	v_add_f64 v[20:21], v[12:13], v[16:17]
	v_add_f64 v[12:13], v[16:17], -v[12:13]
	v_add_f64 v[14:15], v[18:19], -v[14:15]
	v_add_f64 v[18:19], v[26:27], v[62:63]
	v_add_f64 v[16:17], v[24:25], v[60:61]
	v_add_f64 v[64:65], v[24:25], -v[60:61]
	v_add_f64 v[66:67], v[26:27], -v[62:63]
	;; [unrolled: 1-line block ×6, first 2 shown]
	v_add_f64 v[68:69], v[12:13], v[8:9]
	v_add_f64 v[70:71], v[14:15], v[10:11]
	v_add_f64 v[72:73], v[12:13], -v[8:9]
	v_add_f64 v[74:75], v[14:15], -v[10:11]
	v_add_f64 v[16:17], v[20:21], v[16:17]
	v_add_f64 v[18:19], v[22:23], v[18:19]
	v_add_f64 v[8:9], v[8:9], -v[4:5]
	v_add_f64 v[10:11], v[10:11], -v[6:7]
	;; [unrolled: 1-line block ×4, first 2 shown]
	v_add_f64 v[4:5], v[68:69], v[4:5]
	v_add_f64 v[6:7], v[70:71], v[6:7]
	;; [unrolled: 1-line block ×4, first 2 shown]
	v_mul_f64 v[20:21], v[60:61], s[2:3]
	v_mul_f64 v[22:23], v[62:63], s[2:3]
	v_mul_f64 v[60:61], v[24:25], s[0:1]
	v_mul_f64 v[62:63], v[26:27], s[0:1]
	v_mul_f64 v[68:69], v[72:73], s[6:7]
	v_mul_f64 v[70:71], v[74:75], s[6:7]
	v_mul_f64 v[72:73], v[8:9], s[4:5]
	v_mul_f64 v[74:75], v[10:11], s[4:5]
	v_fma_f64 v[16:17], v[16:17], s[12:13], v[0:1]
	v_fma_f64 v[18:19], v[18:19], s[12:13], v[2:3]
	;; [unrolled: 1-line block ×4, first 2 shown]
	v_fma_f64 v[60:61], v[64:65], s[14:15], -v[60:61]
	v_fma_f64 v[62:63], v[66:67], s[14:15], -v[62:63]
	;; [unrolled: 1-line block ×4, first 2 shown]
	v_fma_f64 v[64:65], v[12:13], s[18:19], v[68:69]
	v_fma_f64 v[66:67], v[14:15], s[18:19], v[70:71]
	v_fma_f64 v[8:9], v[8:9], s[4:5], -v[68:69]
	v_fma_f64 v[10:11], v[10:11], s[4:5], -v[70:71]
	;; [unrolled: 1-line block ×4, first 2 shown]
	v_add_f64 v[24:25], v[24:25], v[16:17]
	v_add_f64 v[26:27], v[26:27], v[18:19]
	;; [unrolled: 1-line block ×6, first 2 shown]
	v_fma_f64 v[20:21], v[6:7], s[24:25], v[66:67]
	v_fma_f64 v[22:23], v[4:5], s[24:25], v[64:65]
	;; [unrolled: 1-line block ×7, first 2 shown]
	v_fma_f64 v[10:11], v[144:145], v[102:103], -v[58:59]
	v_add_f64 v[56:57], v[20:21], v[24:25]
	v_add_f64 v[58:59], v[26:27], -v[22:23]
	v_add_f64 v[60:61], v[14:15], v[16:17]
	v_add_f64 v[62:63], v[18:19], -v[12:13]
	v_add_f64 v[64:65], v[68:69], -v[6:7]
	v_add_f64 v[66:67], v[4:5], v[70:71]
	v_add_f64 v[68:69], v[6:7], v[68:69]
	v_add_f64 v[70:71], v[70:71], -v[4:5]
	v_add_f64 v[72:73], v[16:17], -v[14:15]
	v_add_f64 v[74:75], v[12:13], v[18:19]
	v_add_f64 v[4:5], v[28:29], v[8:9]
	;; [unrolled: 1-line block ×5, first 2 shown]
	v_add_f64 v[8:9], v[28:29], -v[8:9]
	v_add_f64 v[10:11], v[30:31], -v[10:11]
	;; [unrolled: 1-line block ×4, first 2 shown]
	v_add_f64 v[28:29], v[36:37], v[76:77]
	v_add_f64 v[30:31], v[38:39], v[78:79]
	v_add_f64 v[32:33], v[76:77], -v[36:37]
	v_add_f64 v[34:35], v[78:79], -v[38:39]
	v_add_f64 v[36:37], v[12:13], v[4:5]
	v_add_f64 v[38:39], v[14:15], v[6:7]
	v_add_f64 v[76:77], v[12:13], -v[4:5]
	v_add_f64 v[78:79], v[14:15], -v[6:7]
	;; [unrolled: 1-line block ×6, first 2 shown]
	v_add_f64 v[80:81], v[32:33], v[16:17]
	v_add_f64 v[82:83], v[34:35], v[18:19]
	v_add_f64 v[84:85], v[32:33], -v[16:17]
	v_add_f64 v[86:87], v[34:35], -v[18:19]
	v_add_f64 v[28:29], v[28:29], v[36:37]
	v_add_f64 v[30:31], v[30:31], v[38:39]
	v_add_f64 v[16:17], v[16:17], -v[8:9]
	v_add_f64 v[18:19], v[18:19], -v[10:11]
	;; [unrolled: 1-line block ×4, first 2 shown]
	v_add_f64 v[8:9], v[80:81], v[8:9]
	v_add_f64 v[10:11], v[82:83], v[10:11]
	;; [unrolled: 1-line block ×4, first 2 shown]
	v_mul_f64 v[4:5], v[4:5], s[2:3]
	v_mul_f64 v[6:7], v[6:7], s[2:3]
	;; [unrolled: 1-line block ×8, first 2 shown]
	v_fma_f64 v[28:29], v[28:29], s[12:13], v[52:53]
	v_fma_f64 v[30:31], v[30:31], s[12:13], v[54:55]
	v_fma_f64 v[12:13], v[12:13], s[0:1], v[4:5]
	v_fma_f64 v[14:15], v[14:15], s[0:1], v[6:7]
	v_fma_f64 v[36:37], v[76:77], s[14:15], -v[36:37]
	v_fma_f64 v[38:39], v[78:79], s[14:15], -v[38:39]
	;; [unrolled: 1-line block ×4, first 2 shown]
	v_fma_f64 v[76:77], v[32:33], s[18:19], v[80:81]
	v_fma_f64 v[78:79], v[34:35], s[18:19], v[82:83]
	v_fma_f64 v[16:17], v[16:17], s[4:5], -v[80:81]
	v_fma_f64 v[18:19], v[18:19], s[4:5], -v[82:83]
	;; [unrolled: 1-line block ×4, first 2 shown]
	v_add_f64 v[12:13], v[12:13], v[28:29]
	v_add_f64 v[14:15], v[14:15], v[30:31]
	;; [unrolled: 1-line block ×6, first 2 shown]
	v_fma_f64 v[28:29], v[10:11], s[24:25], v[78:79]
	v_fma_f64 v[30:31], v[8:9], s[24:25], v[76:77]
	;; [unrolled: 1-line block ×6, first 2 shown]
	v_add_f64 v[76:77], v[24:25], -v[20:21]
	v_add_f64 v[78:79], v[22:23], v[26:27]
	v_add_f64 v[80:81], v[28:29], v[12:13]
	v_add_f64 v[82:83], v[14:15], -v[30:31]
	v_add_f64 v[84:85], v[34:35], v[4:5]
	v_add_f64 v[86:87], v[6:7], -v[32:33]
	v_add_f64 v[88:89], v[36:37], -v[10:11]
	v_add_f64 v[90:91], v[8:9], v[38:39]
	v_add_f64 v[92:93], v[10:11], v[36:37]
	v_add_f64 v[94:95], v[38:39], -v[8:9]
	v_add_f64 v[96:97], v[4:5], -v[34:35]
	v_add_f64 v[98:99], v[32:33], v[6:7]
	v_add_f64 v[100:101], v[12:13], -v[28:29]
	v_add_f64 v[102:103], v[30:31], v[14:15]
	ds_write_b128 v232, v[0:3]
	ds_write_b128 v232, v[56:59] offset:416
	ds_write_b128 v232, v[60:63] offset:832
	;; [unrolled: 1-line block ×13, first 2 shown]
	s_waitcnt lgkmcnt(0)
	; wave barrier
	s_waitcnt lgkmcnt(0)
	ds_read_b128 v[0:3], v232
	buffer_load_dword v4, off, s[48:51], 0  ; 4-byte Folded Reload
	buffer_load_dword v5, off, s[48:51], 0 offset:4 ; 4-byte Folded Reload
	buffer_load_dword v17, off, s[48:51], 0 offset:12 ; 4-byte Folded Reload
	s_mov_b32 s2, 0x16816817
	s_mov_b32 s3, 0x3f768168
	s_waitcnt lgkmcnt(0)
	v_mul_f64 v[10:11], v[46:47], v[2:3]
	v_mul_f64 v[12:13], v[46:47], v[0:1]
	s_mul_hi_u32 s4, s8, 0xe0
	s_mul_i32 s5, s8, 0xe0
	v_fma_f64 v[0:1], v[44:45], v[0:1], v[10:11]
	v_fma_f64 v[2:3], v[44:45], v[2:3], -v[12:13]
	v_mul_f64 v[0:1], v[0:1], s[2:3]
	v_mul_f64 v[2:3], v[2:3], s[2:3]
	s_waitcnt vmcnt(2)
	v_mov_b32_e32 v14, v4
	v_mad_u64_u32 v[8:9], s[0:1], s10, v14, 0
	s_waitcnt vmcnt(1)
	ds_read_b128 v[4:7], v232 offset:224
	v_mad_u64_u32 v[14:15], s[0:1], s11, v14, v[9:10]
	s_waitcnt vmcnt(0)
	v_mad_u64_u32 v[15:16], s[0:1], s8, v17, 0
	v_mov_b32_e32 v9, v14
	v_lshlrev_b64 v[8:9], 4, v[8:9]
	v_mov_b32_e32 v10, v16
	v_mad_u64_u32 v[10:11], s[0:1], s9, v17, v[10:11]
	buffer_load_dword v17, off, s[48:51], 0 offset:112 ; 4-byte Folded Reload
	buffer_load_dword v18, off, s[48:51], 0 offset:116 ; 4-byte Folded Reload
	;; [unrolled: 1-line block ×4, first 2 shown]
	v_mov_b32_e32 v14, s23
	v_mov_b32_e32 v16, v10
	v_add_co_u32_e64 v26, s[0:1], s22, v8
	v_addc_co_u32_e64 v27, s[0:1], v14, v9, s[0:1]
	v_lshlrev_b64 v[8:9], 4, v[15:16]
	ds_read_b128 v[44:47], v232 offset:672
	v_add_co_u32_e64 v8, s[0:1], v26, v8
	v_addc_co_u32_e64 v9, s[0:1], v27, v9, s[0:1]
	global_store_dwordx4 v[8:9], v[0:3], off
	s_mul_i32 s0, s9, 0xe0
	s_add_i32 s4, s4, s0
	v_mov_b32_e32 v16, s4
	v_add_co_u32_e64 v8, s[0:1], s5, v8
	v_addc_co_u32_e64 v9, s[0:1], v9, v16, s[0:1]
	v_mov_b32_e32 v22, s4
	s_waitcnt vmcnt(1) lgkmcnt(1)
	v_mul_f64 v[10:11], v[19:20], v[6:7]
	v_mul_f64 v[12:13], v[19:20], v[4:5]
	v_fma_f64 v[10:11], v[17:18], v[4:5], v[10:11]
	v_fma_f64 v[12:13], v[17:18], v[6:7], -v[12:13]
	ds_read_b128 v[4:7], v232 offset:448
	buffer_load_dword v17, off, s[48:51], 0 offset:160 ; 4-byte Folded Reload
	buffer_load_dword v18, off, s[48:51], 0 offset:164 ; 4-byte Folded Reload
	;; [unrolled: 1-line block ×4, first 2 shown]
	v_mul_f64 v[0:1], v[10:11], s[2:3]
	v_mul_f64 v[2:3], v[12:13], s[2:3]
	s_waitcnt vmcnt(0) lgkmcnt(0)
	v_mul_f64 v[10:11], v[19:20], v[6:7]
	v_mul_f64 v[14:15], v[19:20], v[4:5]
	v_fma_f64 v[4:5], v[17:18], v[4:5], v[10:11]
	v_fma_f64 v[6:7], v[17:18], v[6:7], -v[14:15]
	buffer_load_dword v17, off, s[48:51], 0 offset:80 ; 4-byte Folded Reload
	buffer_load_dword v18, off, s[48:51], 0 offset:84 ; 4-byte Folded Reload
	;; [unrolled: 1-line block ×4, first 2 shown]
	s_waitcnt vmcnt(0)
	v_mul_f64 v[10:11], v[19:20], v[46:47]
	v_mul_f64 v[12:13], v[19:20], v[44:45]
	global_store_dwordx4 v[8:9], v[0:3], off
	v_add_co_u32_e64 v8, s[0:1], s5, v8
	v_mul_f64 v[0:1], v[4:5], s[2:3]
	v_mul_f64 v[2:3], v[6:7], s[2:3]
	ds_read_b128 v[4:7], v232 offset:896
	v_fma_f64 v[10:11], v[17:18], v[44:45], v[10:11]
	v_fma_f64 v[12:13], v[17:18], v[46:47], -v[12:13]
	ds_read_b128 v[16:19], v232 offset:1120
	buffer_load_dword v28, off, s[48:51], 0 offset:144 ; 4-byte Folded Reload
	buffer_load_dword v29, off, s[48:51], 0 offset:148 ; 4-byte Folded Reload
	;; [unrolled: 1-line block ×4, first 2 shown]
	v_addc_co_u32_e64 v9, s[0:1], v9, v22, s[0:1]
	global_store_dwordx4 v[8:9], v[0:3], off
	s_waitcnt vmcnt(1) lgkmcnt(1)
	v_mul_f64 v[14:15], v[30:31], v[6:7]
	v_mul_f64 v[20:21], v[30:31], v[4:5]
	;; [unrolled: 1-line block ×4, first 2 shown]
	v_fma_f64 v[4:5], v[28:29], v[4:5], v[14:15]
	v_fma_f64 v[6:7], v[28:29], v[6:7], -v[20:21]
	buffer_load_dword v28, off, s[48:51], 0 offset:48 ; 4-byte Folded Reload
	buffer_load_dword v29, off, s[48:51], 0 offset:52 ; 4-byte Folded Reload
	;; [unrolled: 1-line block ×4, first 2 shown]
	v_add_co_u32_e64 v14, s[0:1], s5, v8
	v_addc_co_u32_e64 v15, s[0:1], v9, v22, s[0:1]
	global_store_dwordx4 v[14:15], v[0:3], off
	v_add_co_u32_e64 v14, s[0:1], s5, v14
	v_mul_f64 v[0:1], v[4:5], s[2:3]
	v_mul_f64 v[2:3], v[6:7], s[2:3]
	ds_read_b128 v[4:7], v232 offset:1344
	v_addc_co_u32_e64 v15, s[0:1], v15, v22, s[0:1]
	global_store_dwordx4 v[14:15], v[0:3], off
	v_add_co_u32_e64 v14, s[0:1], s5, v14
	v_addc_co_u32_e64 v15, s[0:1], v15, v22, s[0:1]
	s_waitcnt vmcnt(2) lgkmcnt(1)
	v_mul_f64 v[10:11], v[30:31], v[18:19]
	v_mul_f64 v[12:13], v[30:31], v[16:17]
	v_fma_f64 v[16:17], v[28:29], v[16:17], v[10:11]
	ds_read_b128 v[8:11], v232 offset:1568
	v_fma_f64 v[12:13], v[28:29], v[18:19], -v[12:13]
	s_waitcnt lgkmcnt(1)
	v_mul_f64 v[18:19], v[50:51], v[6:7]
	v_mul_f64 v[20:21], v[50:51], v[4:5]
	;; [unrolled: 1-line block ×3, first 2 shown]
	s_waitcnt lgkmcnt(0)
	v_mul_f64 v[16:17], v[42:43], v[8:9]
	v_mul_f64 v[2:3], v[12:13], s[2:3]
	v_fma_f64 v[4:5], v[48:49], v[4:5], v[18:19]
	v_fma_f64 v[6:7], v[48:49], v[6:7], -v[20:21]
	v_mul_f64 v[12:13], v[42:43], v[10:11]
	v_mov_b32_e32 v18, s4
	v_mov_b32_e32 v20, s4
	global_store_dwordx4 v[14:15], v[0:3], off
	s_nop 0
	v_mul_f64 v[0:1], v[4:5], s[2:3]
	v_mul_f64 v[2:3], v[6:7], s[2:3]
	v_fma_f64 v[4:5], v[40:41], v[8:9], v[12:13]
	v_add_co_u32_e64 v12, s[0:1], s5, v14
	v_addc_co_u32_e64 v13, s[0:1], v15, v18, s[0:1]
	v_fma_f64 v[6:7], v[40:41], v[10:11], -v[16:17]
	ds_read_b128 v[8:11], v232 offset:2016
	global_store_dwordx4 v[12:13], v[0:3], off
	ds_read_b128 v[0:3], v232 offset:1792
	buffer_load_dword v28, off, s[48:51], 0 offset:128 ; 4-byte Folded Reload
	buffer_load_dword v29, off, s[48:51], 0 offset:132 ; 4-byte Folded Reload
	buffer_load_dword v30, off, s[48:51], 0 offset:136 ; 4-byte Folded Reload
	buffer_load_dword v31, off, s[48:51], 0 offset:140 ; 4-byte Folded Reload
	buffer_load_dword v22, off, s[48:51], 0 offset:8 ; 4-byte Folded Reload
	v_mul_f64 v[4:5], v[4:5], s[2:3]
	v_mul_f64 v[6:7], v[6:7], s[2:3]
	s_waitcnt vmcnt(1) lgkmcnt(0)
	v_mul_f64 v[14:15], v[30:31], v[2:3]
	v_mul_f64 v[16:17], v[30:31], v[0:1]
	s_waitcnt vmcnt(0)
	v_mad_u64_u32 v[18:19], s[0:1], s8, v22, 0
	v_add_co_u32_e64 v12, s[0:1], s5, v12
	v_addc_co_u32_e64 v13, s[0:1], v13, v20, s[0:1]
	v_fma_f64 v[0:1], v[28:29], v[0:1], v[14:15]
	v_fma_f64 v[2:3], v[28:29], v[2:3], -v[16:17]
	buffer_load_dword v28, off, s[48:51], 0 offset:96 ; 4-byte Folded Reload
	buffer_load_dword v29, off, s[48:51], 0 offset:100 ; 4-byte Folded Reload
	;; [unrolled: 1-line block ×4, first 2 shown]
	v_mov_b32_e32 v14, v19
	global_store_dwordx4 v[12:13], v[4:7], off
	ds_read_b128 v[4:7], v232 offset:2240
	v_mul_f64 v[0:1], v[0:1], s[2:3]
	v_mul_f64 v[2:3], v[2:3], s[2:3]
	s_waitcnt vmcnt(1)
	v_mul_f64 v[15:16], v[30:31], v[10:11]
	v_mul_f64 v[20:21], v[30:31], v[8:9]
	v_mad_u64_u32 v[22:23], s[0:1], s9, v22, v[14:15]
	v_fma_f64 v[8:9], v[28:29], v[8:9], v[15:16]
	v_mov_b32_e32 v16, 0x1c0
	v_mov_b32_e32 v19, v22
	v_lshlrev_b64 v[17:18], 4, v[18:19]
	v_fma_f64 v[10:11], v[28:29], v[10:11], -v[20:21]
	v_add_co_u32_e64 v14, s[0:1], v26, v17
	v_addc_co_u32_e64 v15, s[0:1], v27, v18, s[0:1]
	global_store_dwordx4 v[14:15], v[0:3], off
	ds_read_b128 v[0:3], v232 offset:2464
	buffer_load_dword v22, off, s[48:51], 0 offset:32 ; 4-byte Folded Reload
	buffer_load_dword v23, off, s[48:51], 0 offset:36 ; 4-byte Folded Reload
	;; [unrolled: 1-line block ×4, first 2 shown]
	v_mad_u64_u32 v[12:13], s[0:1], s8, v16, v[12:13]
	ds_read_b128 v[16:19], v232 offset:2688
	buffer_load_dword v29, off, s[48:51], 0 offset:16 ; 4-byte Folded Reload
	buffer_load_dword v30, off, s[48:51], 0 offset:20 ; 4-byte Folded Reload
	buffer_load_dword v31, off, s[48:51], 0 offset:24 ; 4-byte Folded Reload
	buffer_load_dword v32, off, s[48:51], 0 offset:28 ; 4-byte Folded Reload
	v_mul_f64 v[8:9], v[8:9], s[2:3]
	v_mul_f64 v[10:11], v[10:11], s[2:3]
	s_mul_i32 s0, s9, 0x1c0
	v_add_u32_e32 v13, s0, v13
	v_mov_b32_e32 v28, s4
	s_waitcnt vmcnt(4) lgkmcnt(2)
	v_mul_f64 v[14:15], v[24:25], v[6:7]
	v_mul_f64 v[20:21], v[24:25], v[4:5]
	v_fma_f64 v[4:5], v[22:23], v[4:5], v[14:15]
	v_fma_f64 v[6:7], v[22:23], v[6:7], -v[20:21]
	s_waitcnt vmcnt(0) lgkmcnt(1)
	v_mul_f64 v[14:15], v[31:32], v[2:3]
	v_mul_f64 v[20:21], v[31:32], v[0:1]
	buffer_load_dword v31, off, s[48:51], 0 offset:64 ; 4-byte Folded Reload
	buffer_load_dword v32, off, s[48:51], 0 offset:68 ; 4-byte Folded Reload
	;; [unrolled: 1-line block ×4, first 2 shown]
	v_mul_f64 v[4:5], v[4:5], s[2:3]
	global_store_dwordx4 v[12:13], v[8:11], off
	v_fma_f64 v[0:1], v[29:30], v[0:1], v[14:15]
	v_fma_f64 v[2:3], v[29:30], v[2:3], -v[20:21]
	v_mul_f64 v[6:7], v[6:7], s[2:3]
	v_add_co_u32_e64 v12, s[0:1], s5, v12
	v_addc_co_u32_e64 v13, s[0:1], v13, v28, s[0:1]
	v_mov_b32_e32 v14, s4
	v_mul_f64 v[0:1], v[0:1], s[2:3]
	v_mul_f64 v[2:3], v[2:3], s[2:3]
	global_store_dwordx4 v[12:13], v[4:7], off
	s_waitcnt vmcnt(2) lgkmcnt(0)
	v_mul_f64 v[22:23], v[33:34], v[18:19]
	v_mul_f64 v[24:25], v[33:34], v[16:17]
	v_fma_f64 v[8:9], v[31:32], v[16:17], v[22:23]
	v_fma_f64 v[10:11], v[31:32], v[18:19], -v[24:25]
	v_mul_f64 v[4:5], v[8:9], s[2:3]
	v_mul_f64 v[6:7], v[10:11], s[2:3]
	v_add_co_u32_e64 v8, s[0:1], s5, v12
	v_addc_co_u32_e64 v9, s[0:1], v13, v14, s[0:1]
	global_store_dwordx4 v[8:9], v[0:3], off
	s_nop 0
	v_mov_b32_e32 v1, s4
	v_add_co_u32_e64 v0, s[0:1], s5, v8
	v_addc_co_u32_e64 v1, s[0:1], v9, v1, s[0:1]
	global_store_dwordx4 v[0:1], v[4:7], off
	s_and_b64 exec, exec, vcc
	s_cbranch_execz .LBB0_15
; %bb.14:
	s_load_dwordx4 s[4:7], s[20:21], 0xd0
	ds_read_b128 v[0:3], v255 offset:208
	ds_read_b128 v[4:7], v255 offset:432
	s_waitcnt lgkmcnt(0)
	v_mul_f64 v[8:9], v[2:3], s[6:7]
	v_mul_f64 v[10:11], v[0:1], s[6:7]
	v_fma_f64 v[0:1], v[0:1], s[4:5], v[8:9]
	v_fma_f64 v[2:3], s[4:5], v[2:3], -v[10:11]
	v_mov_b32_e32 v8, 0xd0
	v_mad_u64_u32 v[8:9], s[0:1], s8, v8, v[26:27]
	s_mul_i32 s0, s9, 0xd0
	v_add_u32_e32 v9, s0, v9
	v_mul_f64 v[0:1], v[0:1], s[2:3]
	v_mul_f64 v[2:3], v[2:3], s[2:3]
	global_store_dwordx4 v[8:9], v[0:3], off
	s_load_dwordx4 s[4:7], s[20:21], 0x1b0
	s_waitcnt lgkmcnt(0)
	v_mul_f64 v[0:1], v[6:7], s[6:7]
	v_mul_f64 v[2:3], v[4:5], s[6:7]
	v_fma_f64 v[0:1], v[4:5], s[4:5], v[0:1]
	v_fma_f64 v[2:3], s[4:5], v[6:7], -v[2:3]
	v_mov_b32_e32 v4, 0x1b0
	v_mad_u64_u32 v[4:5], s[0:1], s8, v4, v[26:27]
	s_mul_i32 s0, s9, 0x1b0
	v_add_u32_e32 v5, s0, v5
	v_mul_f64 v[0:1], v[0:1], s[2:3]
	v_mul_f64 v[2:3], v[2:3], s[2:3]
	global_store_dwordx4 v[4:5], v[0:3], off
	s_load_dwordx4 s[4:7], s[20:21], 0x290
	ds_read_b128 v[0:3], v255 offset:656
	ds_read_b128 v[4:7], v255 offset:880
	s_waitcnt lgkmcnt(0)
	v_mul_f64 v[8:9], v[2:3], s[6:7]
	v_mul_f64 v[10:11], v[0:1], s[6:7]
	v_fma_f64 v[0:1], v[0:1], s[4:5], v[8:9]
	v_fma_f64 v[2:3], s[4:5], v[2:3], -v[10:11]
	v_mov_b32_e32 v8, 0x290
	v_mad_u64_u32 v[8:9], s[0:1], s8, v8, v[26:27]
	s_mul_i32 s0, s9, 0x290
	v_add_u32_e32 v9, s0, v9
	v_mul_f64 v[0:1], v[0:1], s[2:3]
	v_mul_f64 v[2:3], v[2:3], s[2:3]
	global_store_dwordx4 v[8:9], v[0:3], off
	s_load_dwordx4 s[4:7], s[20:21], 0x370
	s_waitcnt lgkmcnt(0)
	v_mul_f64 v[0:1], v[6:7], s[6:7]
	v_mul_f64 v[2:3], v[4:5], s[6:7]
	v_fma_f64 v[0:1], v[4:5], s[4:5], v[0:1]
	v_fma_f64 v[2:3], s[4:5], v[6:7], -v[2:3]
	v_mov_b32_e32 v4, 0x370
	v_mad_u64_u32 v[4:5], s[0:1], s8, v4, v[26:27]
	s_mul_i32 s0, s9, 0x370
	v_add_u32_e32 v5, s0, v5
	v_mul_f64 v[0:1], v[0:1], s[2:3]
	v_mul_f64 v[2:3], v[2:3], s[2:3]
	global_store_dwordx4 v[4:5], v[0:3], off
	;; [unrolled: 28-line block ×5, first 2 shown]
	s_load_dwordx4 s[4:7], s[20:21], 0x990
	ds_read_b128 v[0:3], v255 offset:2448
	ds_read_b128 v[4:7], v255 offset:2672
	s_waitcnt lgkmcnt(0)
	v_mul_f64 v[8:9], v[2:3], s[6:7]
	v_mul_f64 v[10:11], v[0:1], s[6:7]
	v_fma_f64 v[0:1], v[0:1], s[4:5], v[8:9]
	v_fma_f64 v[2:3], s[4:5], v[2:3], -v[10:11]
	v_mov_b32_e32 v8, 0x990
	v_mad_u64_u32 v[8:9], s[0:1], s8, v8, v[26:27]
	s_mul_i32 s0, s9, 0x990
	v_add_u32_e32 v9, s0, v9
	v_mul_f64 v[0:1], v[0:1], s[2:3]
	v_mul_f64 v[2:3], v[2:3], s[2:3]
	global_store_dwordx4 v[8:9], v[0:3], off
	s_load_dwordx4 s[4:7], s[20:21], 0xa70
	s_waitcnt lgkmcnt(0)
	v_mul_f64 v[0:1], v[6:7], s[6:7]
	v_mul_f64 v[2:3], v[4:5], s[6:7]
	v_fma_f64 v[0:1], v[4:5], s[4:5], v[0:1]
	v_fma_f64 v[2:3], s[4:5], v[6:7], -v[2:3]
	v_mov_b32_e32 v4, 0xa70
	v_mad_u64_u32 v[8:9], s[0:1], s8, v4, v[26:27]
	s_mul_i32 s0, s9, 0xa70
	ds_read_b128 v[4:7], v255 offset:2896
	v_add_u32_e32 v9, s0, v9
	v_mul_f64 v[0:1], v[0:1], s[2:3]
	v_mul_f64 v[2:3], v[2:3], s[2:3]
	global_store_dwordx4 v[8:9], v[0:3], off
	s_load_dwordx4 s[4:7], s[20:21], 0xb50
	s_waitcnt lgkmcnt(0)
	v_mul_f64 v[0:1], v[6:7], s[6:7]
	v_mul_f64 v[2:3], v[4:5], s[6:7]
	v_fma_f64 v[0:1], v[4:5], s[4:5], v[0:1]
	v_fma_f64 v[2:3], s[4:5], v[6:7], -v[2:3]
	v_mov_b32_e32 v4, 0xb50
	v_mad_u64_u32 v[4:5], s[0:1], s8, v4, v[26:27]
	s_mul_i32 s0, s9, 0xb50
	v_add_u32_e32 v5, s0, v5
	v_mul_f64 v[0:1], v[0:1], s[2:3]
	v_mul_f64 v[2:3], v[2:3], s[2:3]
	global_store_dwordx4 v[4:5], v[0:3], off
.LBB0_15:
	s_endpgm
	.section	.rodata,"a",@progbits
	.p2align	6, 0x0
	.amdhsa_kernel bluestein_single_fwd_len182_dim1_dp_op_CI_CI
		.amdhsa_group_segment_fixed_size 11648
		.amdhsa_private_segment_fixed_size 212
		.amdhsa_kernarg_size 104
		.amdhsa_user_sgpr_count 6
		.amdhsa_user_sgpr_private_segment_buffer 1
		.amdhsa_user_sgpr_dispatch_ptr 0
		.amdhsa_user_sgpr_queue_ptr 0
		.amdhsa_user_sgpr_kernarg_segment_ptr 1
		.amdhsa_user_sgpr_dispatch_id 0
		.amdhsa_user_sgpr_flat_scratch_init 0
		.amdhsa_user_sgpr_private_segment_size 0
		.amdhsa_uses_dynamic_stack 0
		.amdhsa_system_sgpr_private_segment_wavefront_offset 1
		.amdhsa_system_sgpr_workgroup_id_x 1
		.amdhsa_system_sgpr_workgroup_id_y 0
		.amdhsa_system_sgpr_workgroup_id_z 0
		.amdhsa_system_sgpr_workgroup_info 0
		.amdhsa_system_vgpr_workitem_id 0
		.amdhsa_next_free_vgpr 256
		.amdhsa_next_free_sgpr 52
		.amdhsa_reserve_vcc 1
		.amdhsa_reserve_flat_scratch 0
		.amdhsa_float_round_mode_32 0
		.amdhsa_float_round_mode_16_64 0
		.amdhsa_float_denorm_mode_32 3
		.amdhsa_float_denorm_mode_16_64 3
		.amdhsa_dx10_clamp 1
		.amdhsa_ieee_mode 1
		.amdhsa_fp16_overflow 0
		.amdhsa_exception_fp_ieee_invalid_op 0
		.amdhsa_exception_fp_denorm_src 0
		.amdhsa_exception_fp_ieee_div_zero 0
		.amdhsa_exception_fp_ieee_overflow 0
		.amdhsa_exception_fp_ieee_underflow 0
		.amdhsa_exception_fp_ieee_inexact 0
		.amdhsa_exception_int_div_zero 0
	.end_amdhsa_kernel
	.text
.Lfunc_end0:
	.size	bluestein_single_fwd_len182_dim1_dp_op_CI_CI, .Lfunc_end0-bluestein_single_fwd_len182_dim1_dp_op_CI_CI
                                        ; -- End function
	.section	.AMDGPU.csdata,"",@progbits
; Kernel info:
; codeLenInByte = 28600
; NumSgprs: 56
; NumVgprs: 256
; ScratchSize: 212
; MemoryBound: 0
; FloatMode: 240
; IeeeMode: 1
; LDSByteSize: 11648 bytes/workgroup (compile time only)
; SGPRBlocks: 6
; VGPRBlocks: 63
; NumSGPRsForWavesPerEU: 56
; NumVGPRsForWavesPerEU: 256
; Occupancy: 1
; WaveLimiterHint : 1
; COMPUTE_PGM_RSRC2:SCRATCH_EN: 1
; COMPUTE_PGM_RSRC2:USER_SGPR: 6
; COMPUTE_PGM_RSRC2:TRAP_HANDLER: 0
; COMPUTE_PGM_RSRC2:TGID_X_EN: 1
; COMPUTE_PGM_RSRC2:TGID_Y_EN: 0
; COMPUTE_PGM_RSRC2:TGID_Z_EN: 0
; COMPUTE_PGM_RSRC2:TIDIG_COMP_CNT: 0
	.type	__hip_cuid_4bf9886236a3b3a1,@object ; @__hip_cuid_4bf9886236a3b3a1
	.section	.bss,"aw",@nobits
	.globl	__hip_cuid_4bf9886236a3b3a1
__hip_cuid_4bf9886236a3b3a1:
	.byte	0                               ; 0x0
	.size	__hip_cuid_4bf9886236a3b3a1, 1

	.ident	"AMD clang version 19.0.0git (https://github.com/RadeonOpenCompute/llvm-project roc-6.4.0 25133 c7fe45cf4b819c5991fe208aaa96edf142730f1d)"
	.section	".note.GNU-stack","",@progbits
	.addrsig
	.addrsig_sym __hip_cuid_4bf9886236a3b3a1
	.amdgpu_metadata
---
amdhsa.kernels:
  - .args:
      - .actual_access:  read_only
        .address_space:  global
        .offset:         0
        .size:           8
        .value_kind:     global_buffer
      - .actual_access:  read_only
        .address_space:  global
        .offset:         8
        .size:           8
        .value_kind:     global_buffer
      - .actual_access:  read_only
        .address_space:  global
        .offset:         16
        .size:           8
        .value_kind:     global_buffer
      - .actual_access:  read_only
        .address_space:  global
        .offset:         24
        .size:           8
        .value_kind:     global_buffer
      - .actual_access:  read_only
        .address_space:  global
        .offset:         32
        .size:           8
        .value_kind:     global_buffer
      - .offset:         40
        .size:           8
        .value_kind:     by_value
      - .address_space:  global
        .offset:         48
        .size:           8
        .value_kind:     global_buffer
      - .address_space:  global
        .offset:         56
        .size:           8
        .value_kind:     global_buffer
      - .address_space:  global
        .offset:         64
        .size:           8
        .value_kind:     global_buffer
      - .address_space:  global
        .offset:         72
        .size:           8
        .value_kind:     global_buffer
      - .offset:         80
        .size:           4
        .value_kind:     by_value
      - .address_space:  global
        .offset:         88
        .size:           8
        .value_kind:     global_buffer
      - .address_space:  global
        .offset:         96
        .size:           8
        .value_kind:     global_buffer
    .group_segment_fixed_size: 11648
    .kernarg_segment_align: 8
    .kernarg_segment_size: 104
    .language:       OpenCL C
    .language_version:
      - 2
      - 0
    .max_flat_workgroup_size: 52
    .name:           bluestein_single_fwd_len182_dim1_dp_op_CI_CI
    .private_segment_fixed_size: 212
    .sgpr_count:     56
    .sgpr_spill_count: 0
    .symbol:         bluestein_single_fwd_len182_dim1_dp_op_CI_CI.kd
    .uniform_work_group_size: 1
    .uses_dynamic_stack: false
    .vgpr_count:     256
    .vgpr_spill_count: 52
    .wavefront_size: 64
amdhsa.target:   amdgcn-amd-amdhsa--gfx906
amdhsa.version:
  - 1
  - 2
...

	.end_amdgpu_metadata
